;; amdgpu-corpus repo=zjin-lcf/HeCBench kind=compiled arch=gfx950 opt=O3
	.amdgcn_target "amdgcn-amd-amdhsa--gfx950"
	.amdhsa_code_object_version 6
	.text
	.protected	_Z7kernel1iiiiiiiiiiiiddPKdS0_S0_S0_S0_PdS0_S0_S0_S0_S0_S0_S0_ ; -- Begin function _Z7kernel1iiiiiiiiiiiiddPKdS0_S0_S0_S0_PdS0_S0_S0_S0_S0_S0_S0_
	.globl	_Z7kernel1iiiiiiiiiiiiddPKdS0_S0_S0_S0_PdS0_S0_S0_S0_S0_S0_S0_
	.p2align	8
	.type	_Z7kernel1iiiiiiiiiiiiddPKdS0_S0_S0_S0_PdS0_S0_S0_S0_S0_S0_S0_,@function
_Z7kernel1iiiiiiiiiiiiddPKdS0_S0_S0_S0_PdS0_S0_S0_S0_S0_S0_S0_: ; @_Z7kernel1iiiiiiiiiiiiddPKdS0_S0_S0_S0_PdS0_S0_S0_S0_S0_S0_S0_
; %bb.0:
	s_load_dwordx8 s[20:27], s[0:1], 0x0
	s_load_dwordx2 s[6:7], s[0:1], 0xb4
	v_and_b32_e32 v52, 0x3ff, v0
	v_bfe_u32 v60, v0, 10, 10
	v_bfe_u32 v0, v0, 20, 10
	s_waitcnt lgkmcnt(0)
	v_add_u32_e32 v61, s20, v52
	s_and_b32 s5, s7, 0xffff
	s_lshr_b32 s7, s6, 16
	s_and_b32 s6, s6, 0xffff
	s_mul_i32 s33, s2, s6
	v_add_u32_e32 v45, s22, v60
	s_mul_i32 s39, s3, s7
	s_mul_i32 s2, s4, s5
	v_add_u32_e32 v8, s33, v61
	v_add_u32_e32 v44, s39, v45
	s_add_i32 s2, s2, s24
	v_add_u32_e32 v48, s2, v0
	v_cmp_gt_i32_e32 vcc, s21, v8
	v_cmp_gt_i32_e64 s[2:3], s23, v44
	s_and_b64 s[2:3], vcc, s[2:3]
	v_cmp_gt_i32_e32 vcc, s25, v48
	s_and_b64 s[2:3], s[2:3], vcc
	s_and_saveexec_b64 s[4:5], s[2:3]
	s_cbranch_execz .LBB0_12
; %bb.1:
	s_load_dwordx4 s[12:15], s[0:1], 0x98
	s_load_dwordx8 s[4:11], s[0:1], 0x40
	s_load_dwordx4 s[28:31], s[0:1], 0x20
	s_sub_i32 s38, s27, s26
	s_not_b32 s2, s38
	s_add_i32 s38, s38, 1
	v_mul_lo_u32 v12, v44, s38
	s_waitcnt lgkmcnt(0)
	s_sub_i32 s40, s29, s28
	s_add_i32 s40, s40, 1
	s_mul_i32 s21, s40, s38
	s_mul_i32 s23, s28, s2
	;; [unrolled: 1-line block ×3, first 2 shown]
	s_add_i32 s2, s26, s2
	s_sub_i32 s3, s23, s2
	v_add_u32_e32 v25, s3, v8
	v_add_u32_e32 v27, v12, v25
	v_mul_lo_u32 v30, v48, s21
	v_add_u32_e32 v14, v27, v30
	v_ashrrev_i32_e32 v15, 31, v14
	v_add_u32_e32 v9, -2, v8
	v_add3_u32 v34, v30, v12, s3
	s_sub_i32 s2, s31, s30
	v_subrev_u32_e32 v0, s26, v8
	v_subrev_u32_e32 v4, s28, v44
	v_lshlrev_b64 v[28:29], 3, v[14:15]
	v_add_u32_e32 v14, v34, v9
	s_add_i32 s2, s2, 1
	v_ashrrev_i32_e32 v1, 31, v0
	v_ashrrev_i32_e32 v5, 31, v4
	v_ashrrev_i32_e32 v15, 31, v14
	s_mul_i32 s2, s2, s21
	v_lshl_add_u64 v[10:11], v[0:1], 3, s[12:13]
	v_lshl_add_u64 v[20:21], v[4:5], 3, s[14:15]
	v_lshlrev_b64 v[14:15], 3, v[14:15]
	s_sub_i32 s36, s3, s2
	global_load_dwordx4 v[0:3], v[10:11], off
	global_load_dwordx4 v[110:113], v[10:11], off offset:-16
	global_load_dwordx4 v[4:7], v[20:21], off
	v_lshl_add_u64 v[16:17], s[6:7], 0, v[14:15]
	scratch_store_dword off, v9, off offset:64 ; 4-byte Folded Spill
	v_lshl_add_u64 v[14:15], s[8:9], 0, v[14:15]
	s_ashr_i32 s37, s36, 31
	v_ashrrev_i32_e32 v9, 31, v8
	global_load_dwordx2 v[54:55], v[14:15], off
	v_ashrrev_i32_e32 v13, 31, v12
	v_lshl_add_u64 v[14:15], v[8:9], 0, s[36:37]
	v_ashrrev_i32_e32 v31, 31, v30
	v_lshl_add_u64 v[14:15], v[14:15], 0, v[12:13]
	s_ashr_i32 s3, s2, 31
	v_lshl_add_u64 v[14:15], v[14:15], 0, v[30:31]
	v_lshl_add_u64 v[14:15], v[14:15], 0, s[2:3]
	;; [unrolled: 1-line block ×3, first 2 shown]
	v_add_u32_e32 v49, -1, v8
	global_load_dwordx4 v[98:101], v[14:15], off offset:-16
	v_add_u32_e32 v14, v34, v49
	v_ashrrev_i32_e32 v15, 31, v14
	v_lshlrev_b64 v[14:15], 3, v[14:15]
	global_load_dwordx2 v[124:125], v[16:17], off
	v_lshl_add_u64 v[16:17], s[6:7], 0, v[14:15]
	v_lshl_add_u64 v[14:15], s[8:9], 0, v[14:15]
	v_add_u32_e32 v31, s36, v8
	global_load_dwordx2 v[56:57], v[14:15], off
	v_lshl_add_u64 v[14:15], s[6:7], 0, v[28:29]
	v_add_u32_e32 v26, v12, v31
	v_add_u32_e32 v24, 1, v8
	global_load_dwordx2 v[126:127], v[16:17], off
	global_load_dwordx2 v[32:33], v[14:15], off
	v_add_u32_e32 v50, v26, v30
	v_add_u32_e32 v16, v34, v24
	;; [unrolled: 1-line block ×3, first 2 shown]
	v_ashrrev_i32_e32 v17, 31, v16
	v_ashrrev_i32_e32 v13, 31, v12
	v_lshlrev_b64 v[16:17], 3, v[16:17]
	v_lshl_add_u64 v[14:15], s[8:9], 0, v[28:29]
	scratch_store_dwordx2 off, v[12:13], off offset:264 ; 8-byte Folded Spill
	v_lshlrev_b64 v[12:13], 3, v[12:13]
	v_lshl_add_u64 v[18:19], s[6:7], 0, v[16:17]
	v_lshl_add_u64 v[16:17], s[8:9], 0, v[16:17]
	v_add_u32_e32 v47, 2, v8
	global_load_dwordx2 v[22:23], v[14:15], off
	global_load_dwordx2 v[58:59], v[16:17], off
	v_lshl_add_u64 v[14:15], s[10:11], 0, v[12:13]
	v_add_u32_e32 v8, v34, v47
	global_load_dwordx4 v[102:105], v[14:15], off
	v_ashrrev_i32_e32 v9, 31, v8
	global_load_dwordx2 v[92:93], v[18:19], off
	v_lshlrev_b64 v[8:9], 3, v[8:9]
	v_lshl_add_u64 v[16:17], s[6:7], 0, v[8:9]
	global_load_dwordx2 v[122:123], v[16:17], off
	v_lshl_add_u64 v[8:9], s[8:9], 0, v[8:9]
	global_load_dwordx2 v[62:63], v[8:9], off
	global_load_dwordx2 v[108:109], v[14:15], off offset:16
	global_load_dwordx2 v[120:121], v[10:11], off offset:16
	v_lshl_add_u64 v[34:35], s[4:5], 0, v[12:13]
	global_load_dwordx4 v[12:15], v[34:35], off
	global_load_dwordx4 v[16:19], v[34:35], off offset:-16
	s_lshl_b32 s24, s2, 1
	global_load_dwordx2 v[34:35], v[34:35], off offset:16
	v_add_u32_e32 v78, s24, v50
	v_ashrrev_i32_e32 v79, 31, v78
	s_ashr_i32 s25, s24, 31
	v_ashrrev_i32_e32 v51, 31, v50
	s_mul_i32 s34, s2, 3
	s_ashr_i32 s35, s34, 31
	s_add_i32 s22, s22, s29
	s_lshl_b32 s42, s30, 1
	s_sub_i32 s42, s31, s42
	s_add_i32 s22, s39, s22
	s_add_i32 s42, s42, 1
	s_mul_i32 s44, s30, 3
	s_mul_i32 s43, s40, s42
	s_lshl_b32 s29, s29, 1
	s_add_i32 s39, s29, s39
	s_mov_b32 s37, 1
	s_sub_i32 s41, 0, s26
	s_lshl_b32 s42, s21, 1
	s_waitcnt vmcnt(21)
	v_div_scale_f64 v[40:41], s[12:13], v[0:1], v[0:1], 1.0
	s_waitcnt vmcnt(19)
	v_div_scale_f64 v[8:9], s[12:13], v[4:5], v[4:5], 1.0
	v_rcp_f64_e32 v[10:11], v[8:9]
	v_rcp_f64_e32 v[42:43], v[40:41]
	s_mov_b32 s12, 0x55555555
	s_mov_b32 s13, 0x3fc55555
	v_fma_f64 v[36:37], -v[8:9], v[10:11], 1.0
	v_fmac_f64_e32 v[10:11], v[10:11], v[36:37]
	v_fma_f64 v[36:37], -v[8:9], v[10:11], 1.0
	v_fmac_f64_e32 v[10:11], v[10:11], v[36:37]
	v_div_scale_f64 v[36:37], vcc, 1.0, v[4:5], 1.0
	v_mul_f64 v[38:39], v[36:37], v[10:11]
	v_fma_f64 v[8:9], -v[8:9], v[38:39], v[36:37]
	s_waitcnt vmcnt(17)
	scratch_store_dwordx2 off, v[54:55], off offset:424 ; 8-byte Folded Spill
	v_div_fmas_f64 v[8:9], v[8:9], v[10:11], v[38:39]
	v_fma_f64 v[10:11], -v[40:41], v[42:43], 1.0
	v_fmac_f64_e32 v[42:43], v[42:43], v[10:11]
	v_fma_f64 v[10:11], -v[40:41], v[42:43], 1.0
	v_fmac_f64_e32 v[42:43], v[42:43], v[10:11]
	v_div_scale_f64 v[10:11], vcc, 1.0, v[0:1], 1.0
	v_mul_f64 v[36:37], v[10:11], v[42:43]
	v_fma_f64 v[10:11], -v[40:41], v[36:37], v[10:11]
	s_waitcnt vmcnt(15)
	scratch_store_dwordx2 off, v[56:57], off offset:432 ; 8-byte Folded Spill
	v_div_fmas_f64 v[10:11], v[10:11], v[42:43], v[36:37]
	v_fma_f64 v[36:37], 2.0, v[124:125], v[54:55]
	scratch_store_dwordx2 off, v[36:37], off offset:656 ; 8-byte Folded Spill
	s_waitcnt vmcnt(16)
	v_fma_f64 v[38:39], 2.0, v[126:127], v[56:57]
	v_mul_f64 v[36:37], v[36:37], v[98:99]
	scratch_store_dwordx2 off, v[38:39], off offset:648 ; 8-byte Folded Spill
	v_mul_f64 v[38:39], v[38:39], v[100:101]
	v_mul_f64 v[36:37], v[98:99], v[36:37]
	;; [unrolled: 1-line block ×4, first 2 shown]
	v_mov_b64_e32 v[64:65], v[40:41]
	s_waitcnt vmcnt(14)
	v_fmac_f64_e32 v[22:23], 2.0, v[32:33]
	s_waitcnt vmcnt(13)
	scratch_store_dwordx2 off, v[58:59], off offset:464 ; 8-byte Folded Spill
	s_waitcnt vmcnt(13)
	v_mul_f64 v[22:23], v[22:23], v[102:103]
	v_mul_f64 v[42:43], v[102:103], v[22:23]
	s_waitcnt vmcnt(12)
	v_fma_f64 v[22:23], 2.0, v[92:93], v[58:59]
	scratch_store_dwordx2 off, v[22:23], off offset:536 ; 8-byte Folded Spill
	v_mul_f64 v[22:23], v[22:23], v[104:105]
	v_mul_f64 v[22:23], v[104:105], v[22:23]
	s_waitcnt vmcnt(11)
	v_fma_f64 v[58:59], 2.0, v[122:123], v[62:63]
	v_mul_f64 v[54:55], v[0:1], v[42:43]
	v_mul_f64 v[56:57], v[2:3], v[22:23]
	scratch_store_dwordx2 off, v[58:59], off offset:600 ; 8-byte Folded Spill
	s_waitcnt vmcnt(11)
	v_mul_f64 v[58:59], v[58:59], v[108:109]
	scratch_store_dwordx2 off, v[62:63], off offset:504 ; 8-byte Folded Spill
	v_mul_f64 v[58:59], v[108:109], v[58:59]
	v_fma_f64 v[62:63], v[110:111], v[36:37], v[54:55]
	v_fma_f64 v[36:37], v[110:111], v[36:37], v[56:57]
	v_fma_f64 v[38:39], v[112:113], v[38:39], v[54:55]
	v_fmac_f64_e32 v[36:37], 0x40080000, v[38:39]
	s_waitcnt vmcnt(11)
	v_fmac_f64_e32 v[40:41], v[120:121], v[58:59]
	v_fma_f64 v[22:23], v[2:3], v[22:23], v[54:55]
	s_waitcnt vmcnt(9)
	v_add_f64 v[18:19], v[18:19], -v[12:13]
	v_fmac_f64_e32 v[64:65], 0xbfe80000, v[62:63]
	v_fmac_f64_e32 v[40:41], 0x40080000, v[22:23]
	v_add_f64 v[16:17], v[16:17], -v[12:13]
	v_mul_f64 v[22:23], v[36:37], v[18:19]
	v_fmac_f64_e32 v[22:23], v[64:65], v[16:17]
	v_add_f64 v[14:15], v[14:15], -v[12:13]
	v_fmac_f64_e32 v[22:23], v[40:41], v[14:15]
	v_add_u32_e32 v14, -2, v44
	v_mul_lo_u32 v46, v14, s38
	v_add_u32_e32 v66, s38, v46
	v_lshl_add_u32 v67, s38, 1, v66
	v_add3_u32 v71, v46, v31, v30
	v_add3_u32 v68, v66, v31, v30
	v_add_u32_e32 v70, s38, v67
	v_add_u32_e32 v14, s2, v71
	;; [unrolled: 1-line block ×3, first 2 shown]
	v_add3_u32 v80, v67, v31, v30
	v_add3_u32 v81, v70, v31, v30
	v_ashrrev_i32_e32 v15, 31, v14
	v_ashrrev_i32_e32 v17, 31, v16
	v_add_u32_e32 v18, s2, v80
	v_add_u32_e32 v36, s2, v81
	v_lshlrev_b64 v[14:15], 3, v[14:15]
	v_lshlrev_b64 v[16:17], 3, v[16:17]
	v_ashrrev_i32_e32 v19, 31, v18
	v_ashrrev_i32_e32 v37, 31, v36
	v_fmac_f64_e32 v[54:55], v[120:121], v[58:59]
	v_lshlrev_b64 v[18:19], 3, v[18:19]
	v_lshlrev_b64 v[58:59], 3, v[36:37]
	v_lshl_add_u64 v[36:37], s[4:5], 0, v[14:15]
	v_lshl_add_u64 v[38:39], s[4:5], 0, v[16:17]
	global_load_dwordx2 v[36:37], v[36:37], off
	v_fmac_f64_e32 v[56:57], 0xbfe80000, v[54:55]
	global_load_dwordx2 v[40:41], v[38:39], off
	v_lshl_add_u64 v[38:39], s[4:5], 0, v[18:19]
	global_load_dwordx2 v[62:63], v[38:39], off
	v_lshl_add_u64 v[38:39], s[4:5], 0, v[58:59]
	global_load_dwordx2 v[64:65], v[38:39], off
	s_waitcnt vmcnt(12)
	v_add_f64 v[34:35], v[34:35], -v[12:13]
	v_add_u32_e32 v53, v30, v46
	v_fmac_f64_e32 v[22:23], v[56:57], v[34:35]
	v_add_u32_e32 v34, v53, v25
	v_lshl_add_u64 v[14:15], s[10:11], 0, v[14:15]
	v_add_u32_e32 v46, v30, v66
	v_ashrrev_i32_e32 v35, 31, v34
	global_load_dwordx2 v[76:77], v[14:15], off
	v_add_u32_e32 v14, v46, v25
	v_lshlrev_b64 v[54:55], 3, v[34:35]
	v_ashrrev_i32_e32 v15, 31, v14
	v_lshl_add_u64 v[34:35], s[6:7], 0, v[54:55]
	v_lshlrev_b64 v[14:15], 3, v[14:15]
	global_load_dwordx2 v[74:75], v[34:35], off
	v_lshl_add_u64 v[18:19], s[10:11], 0, v[18:19]
	v_add_u32_e32 v106, s24, v68
	v_ashrrev_i32_e32 v107, 31, v106
	v_add_u32_e32 v114, s24, v71
	v_ashrrev_i32_e32 v115, 31, v114
	v_lshl_add_u64 v[58:59], s[10:11], 0, v[58:59]
	v_add_u32_e32 v116, s24, v80
	v_ashrrev_i32_e32 v117, 31, v116
	v_add_u32_e32 v118, s24, v81
	v_ashrrev_i32_e32 v119, 31, v118
	s_waitcnt vmcnt(5)
	v_add_f64 v[38:39], v[36:37], -v[12:13]
	s_waitcnt vmcnt(4)
	v_add_f64 v[40:41], v[40:41], -v[12:13]
	;; [unrolled: 2-line block ×4, first 2 shown]
	v_lshl_add_u64 v[12:13], s[6:7], 0, v[14:15]
	global_load_dwordx2 v[72:73], v[12:13], off
	v_lshl_add_u64 v[12:13], s[8:9], 0, v[54:55]
	v_lshl_add_u64 v[14:15], s[8:9], 0, v[14:15]
	global_load_dwordx2 v[54:55], v[12:13], off
	v_lshl_add_u64 v[12:13], s[10:11], 0, v[16:17]
	global_load_dwordx2 v[14:15], v[14:15], off
	s_nop 0
	global_load_dwordx2 v[82:83], v[12:13], off
	global_load_dwordx4 v[84:87], v[20:21], off offset:-16
	v_mul_f64 v[16:17], v[4:5], v[42:43]
	s_waitcnt vmcnt(3)
	v_fma_f64 v[12:13], 2.0, v[74:75], v[54:55]
	s_waitcnt vmcnt(2)
	scratch_store_dwordx2 off, v[14:15], off offset:8 ; 8-byte Folded Spill
	v_fma_f64 v[14:15], 2.0, v[72:73], v[14:15]
	scratch_store_dwordx2 off, v[14:15], off offset:336 ; 8-byte Folded Spill
	s_waitcnt vmcnt(3)
	v_mul_f64 v[14:15], v[82:83], v[14:15]
	scratch_store_dwordx2 off, v[12:13], off offset:344 ; 8-byte Folded Spill
	v_mul_f64 v[12:13], v[76:77], v[12:13]
	v_mul_f64 v[14:15], v[82:83], v[14:15]
	;; [unrolled: 1-line block ×3, first 2 shown]
	s_waitcnt vmcnt(3)
	v_mul_f64 v[56:57], v[86:87], v[14:15]
	scratch_store_dwordx2 off, v[54:55], off offset:16 ; 8-byte Folded Spill
	v_fma_f64 v[42:43], v[84:85], v[12:13], v[16:17]
	v_mov_b64_e32 v[62:63], v[56:57]
	v_add_u32_e32 v54, v30, v67
	v_fmac_f64_e32 v[62:63], 0xbfe80000, v[42:43]
	v_add_u32_e32 v42, v54, v25
	v_ashrrev_i32_e32 v43, 31, v42
	v_lshlrev_b64 v[42:43], 3, v[42:43]
	v_lshl_add_u64 v[64:65], s[6:7], 0, v[42:43]
	global_load_dwordx2 v[88:89], v[64:65], off
	v_lshl_add_u64 v[42:43], s[8:9], 0, v[42:43]
	global_load_dwordx2 v[42:43], v[42:43], off
	s_nop 0
	global_load_dwordx2 v[90:91], v[18:19], off
	v_add_u32_e32 v55, v30, v70
	scratch_store_dword off, v68, off offset:376 ; 4-byte Folded Spill
	v_lshl_add_u64 v[68:69], v[78:79], 3, s[4:5]
	v_add_u32_e32 v30, v55, v25
	v_ashrrev_i32_e32 v31, 31, v30
	v_lshlrev_b64 v[30:31], 3, v[30:31]
	scratch_store_dword off, v71, off offset:392 ; 4-byte Folded Spill
	s_waitcnt vmcnt(3)
	v_fma_f64 v[18:19], 2.0, v[88:89], v[42:43]
	scratch_store_dwordx2 off, v[18:19], off offset:352 ; 8-byte Folded Spill
	s_waitcnt vmcnt(3)
	v_mul_f64 v[18:19], v[90:91], v[18:19]
	v_mul_f64 v[18:19], v[90:91], v[18:19]
	;; [unrolled: 1-line block ×3, first 2 shown]
	scratch_store_dwordx2 off, v[42:43], off offset:24 ; 8-byte Folded Spill
	v_fma_f64 v[42:43], v[84:85], v[12:13], v[64:65]
	v_fma_f64 v[12:13], v[86:87], v[14:15], v[16:17]
	v_fmac_f64_e32 v[42:43], 0x40080000, v[12:13]
	v_lshl_add_u64 v[12:13], v[106:107], 3, s[4:5]
	global_load_dwordx2 v[66:67], v[12:13], off
	v_fma_f64 v[18:19], v[6:7], v[18:19], v[16:17]
	global_load_dwordx4 v[12:15], v[68:69], off offset:-8
	s_waitcnt vmcnt(0)
	v_add_f64 v[66:67], v[66:67], -v[14:15]
	v_mul_f64 v[42:43], v[66:67], v[42:43]
	v_lshl_add_u64 v[66:67], v[114:115], 3, s[4:5]
	global_load_dwordx2 v[66:67], v[66:67], off
	v_add_f64 v[12:13], v[12:13], -v[14:15]
	s_waitcnt vmcnt(0)
	v_add_f64 v[66:67], v[66:67], -v[14:15]
	v_fmac_f64_e32 v[42:43], v[66:67], v[62:63]
	v_lshl_add_u64 v[62:63], s[6:7], 0, v[30:31]
	global_load_dwordx2 v[70:71], v[62:63], off
	v_lshl_add_u64 v[30:31], s[8:9], 0, v[30:31]
	global_load_dwordx2 v[30:31], v[30:31], off
	s_nop 0
	global_load_dwordx2 v[96:97], v[58:59], off
	global_load_dwordx2 v[94:95], v[20:21], off offset:16
	s_waitcnt vmcnt(2)
	v_fma_f64 v[20:21], 2.0, v[70:71], v[30:31]
	scratch_store_dwordx2 off, v[20:21], off offset:380 ; 8-byte Folded Spill
	s_waitcnt vmcnt(2)
	v_mul_f64 v[20:21], v[96:97], v[20:21]
	v_mul_f64 v[20:21], v[96:97], v[20:21]
	s_waitcnt vmcnt(1)
	v_fmac_f64_e32 v[56:57], v[94:95], v[20:21]
	v_fmac_f64_e32 v[56:57], 0x40080000, v[18:19]
	v_lshl_add_u64 v[18:19], v[116:117], 3, s[4:5]
	v_fmac_f64_e32 v[16:17], v[94:95], v[20:21]
	global_load_dwordx2 v[18:19], v[18:19], off
	v_fmac_f64_e32 v[64:65], 0xbfe80000, v[16:17]
	v_lshl_add_u64 v[16:17], v[118:119], 3, s[4:5]
	global_load_dwordx2 v[16:17], v[16:17], off
	s_waitcnt vmcnt(1)
	v_add_f64 v[18:19], v[18:19], -v[14:15]
	v_fmac_f64_e32 v[42:43], v[18:19], v[56:57]
	scratch_store_dwordx2 off, v[30:31], off offset:40 ; 8-byte Folded Spill
	s_waitcnt vmcnt(1)
	v_add_f64 v[16:17], v[16:17], -v[14:15]
	v_fmac_f64_e32 v[42:43], v[16:17], v[64:65]
	v_mul_f64 v[16:17], v[32:33], v[102:103]
	v_mul_f64 v[20:21], v[102:103], v[16:17]
	;; [unrolled: 1-line block ×8, first 2 shown]
	v_fma_f64 v[16:17], v[110:111], v[62:63], v[32:33]
	v_mov_b64_e32 v[56:57], v[30:31]
	v_fmac_f64_e32 v[56:57], 0xbfe80000, v[16:17]
	v_mul_f64 v[16:17], v[92:93], v[104:105]
	scratch_store_dwordx2 off, v[92:93], off offset:472 ; 8-byte Folded Spill
	v_mul_f64 v[92:93], v[104:105], v[16:17]
	v_mov_b64_e32 v[18:19], v[104:105]
	v_mul_f64 v[58:59], v[2:3], v[92:93]
	scratch_store_dword off, v80, off offset:388 ; 4-byte Folded Spill
	scratch_store_dword off, v81, off offset:396 ; 4-byte Folded Spill
	scratch_store_dwordx2 off, v[124:125], off offset:576 ; 8-byte Folded Spill
	scratch_store_dwordx2 off, v[126:127], off offset:584 ; 8-byte Folded Spill
	scratch_store_dwordx4 off, v[98:101], off offset:400 ; 16-byte Folded Spill
	scratch_store_dwordx4 off, v[16:19], off offset:448 ; 16-byte Folded Spill
	scratch_store_dwordx2 off, v[62:63], off offset:624 ; 8-byte Folded Spill
	v_fma_f64 v[62:63], v[110:111], v[62:63], v[58:59]
	scratch_store_dwordx2 off, v[64:65], off offset:480 ; 8-byte Folded Spill
	scratch_store_dwordx4 off, v[110:113], off offset:512 ; 16-byte Folded Spill
	v_fma_f64 v[16:17], v[112:113], v[64:65], v[32:33]
	v_fmac_f64_e32 v[62:63], 0x40080000, v[16:17]
	global_load_dwordx4 v[16:19], v[68:69], off offset:8
	v_add_u32_e32 v80, s2, v78
	v_mul_f64 v[66:67], v[62:63], v[12:13]
	v_ashrrev_i32_e32 v81, 31, v80
	scratch_store_dwordx2 off, v[122:123], off offset:568 ; 8-byte Folded Spill
	scratch_store_dwordx2 off, v[108:109], off offset:496 ; 8-byte Folded Spill
	scratch_store_dwordx2 off, v[92:93], off offset:440 ; 8-byte Folded Spill
	v_add_u32_e32 v69, s22, v60
	s_lshl_b32 s22, s31, 1
	s_sub_i32 s22, s22, s44
	s_add_i32 s22, s22, 2
	s_mul_i32 s22, s22, s40
	s_mul_i32 s31, s31, 3
	s_lshl_b32 s44, s30, 2
	v_add_u32_e32 v68, s22, v69
	s_sub_i32 s31, s31, s44
	s_add_i32 s31, s31, 3
	s_mul_i32 s31, s31, s40
	s_lshl_b32 s44, s28, 1
	s_add_i32 s22, s39, s22
	s_waitcnt vmcnt(3)
	v_add_f64 v[64:65], v[18:19], -v[14:15]
	v_lshl_add_u64 v[18:19], v[50:51], 0, s[24:25]
	v_lshl_add_u64 v[18:19], v[18:19], 3, s[4:5]
	global_load_dwordx2 v[18:19], v[18:19], off offset:-16
	v_add_f64 v[16:17], v[16:17], -v[14:15]
	s_waitcnt vmcnt(0)
	v_add_f64 v[18:19], v[18:19], -v[14:15]
	v_fmac_f64_e32 v[66:67], v[56:57], v[18:19]
	v_lshl_add_u64 v[18:19], v[80:81], 3, s[4:5]
	global_load_dwordx4 v[12:15], v[18:19], off offset:-8
	s_waitcnt vmcnt(0)
	v_add_f64 v[12:13], v[12:13], -v[14:15]
	v_mul_f64 v[12:13], v[62:63], v[12:13]
	v_lshl_add_u64 v[62:63], v[50:51], 0, s[34:35]
	v_lshl_add_u64 v[62:63], v[62:63], 3, s[4:5]
	global_load_dwordx2 v[62:63], v[62:63], off offset:-16
	s_waitcnt vmcnt(0)
	v_add_f64 v[62:63], v[62:63], -v[14:15]
	v_fmac_f64_e32 v[12:13], v[56:57], v[62:63]
	v_mul_f64 v[56:57], v[122:123], v[108:109]
	v_mul_f64 v[62:63], v[108:109], v[56:57]
	v_fmac_f64_e32 v[30:31], v[120:121], v[62:63]
	v_fma_f64 v[56:57], v[2:3], v[92:93], v[32:33]
	v_fmac_f64_e32 v[30:31], 0x40080000, v[56:57]
	v_fmac_f64_e32 v[66:67], v[30:31], v[16:17]
	global_load_dwordx4 v[16:19], v[18:19], off offset:8
	v_fmac_f64_e32 v[32:33], v[120:121], v[62:63]
	v_fmac_f64_e32 v[58:59], 0xbfe80000, v[32:33]
	;; [unrolled: 1-line block ×3, first 2 shown]
	scratch_store_dwordx2 off, v[120:121], off offset:560 ; 8-byte Folded Spill
	scratch_store_dwordx2 off, v[62:63], off offset:640 ; 8-byte Folded Spill
	;; [unrolled: 1-line block ×7, first 2 shown]
	scratch_store_dwordx2 off, v[90:91], off ; 8-byte Folded Spill
	v_add_u32_e32 v63, s43, v69
	v_add_u32_e32 v62, s23, v61
	s_add_i32 s43, s39, s43
	s_add_i32 s39, s39, s31
	s_waitcnt vmcnt(8)
	v_add_f64 v[16:17], v[16:17], -v[14:15]
	v_fmac_f64_e32 v[12:13], v[30:31], v[16:17]
	v_add_f64 v[16:17], v[18:19], -v[14:15]
	v_fmac_f64_e32 v[12:13], v[58:59], v[16:17]
	v_mul_f64 v[16:17], v[74:75], v[76:77]
	v_mul_f64 v[32:33], v[76:77], v[16:17]
	;; [unrolled: 1-line block ×6, first 2 shown]
	v_fma_f64 v[20:21], v[84:85], v[32:33], v[16:17]
	v_mov_b64_e32 v[30:31], v[18:19]
	v_fmac_f64_e32 v[30:31], 0xbfe80000, v[20:21]
	v_mul_f64 v[20:21], v[88:89], v[90:91]
	v_mul_f64 v[58:59], v[90:91], v[20:21]
	;; [unrolled: 1-line block ×3, first 2 shown]
	scratch_store_dwordx2 off, v[32:33], off offset:672 ; 8-byte Folded Spill
	v_fma_f64 v[32:33], v[84:85], v[32:33], v[20:21]
	scratch_store_dwordx4 off, v[84:87], off offset:312 ; 16-byte Folded Spill
	scratch_store_dwordx2 off, v[56:57], off offset:664 ; 8-byte Folded Spill
	v_fma_f64 v[56:57], v[86:87], v[56:57], v[16:17]
	v_fmac_f64_e32 v[32:33], 0x40080000, v[56:57]
	v_mul_f64 v[40:41], v[32:33], v[40:41]
	v_fmac_f64_e32 v[40:41], v[30:31], v[38:39]
	v_add_u32_e32 v38, s2, v106
	v_ashrrev_i32_e32 v39, 31, v38
	scratch_store_dwordx2 off, v[38:39], off offset:592 ; 8-byte Folded Spill
	v_lshl_add_u64 v[38:39], v[38:39], 3, s[4:5]
	global_load_dwordx2 v[38:39], v[38:39], off
	s_waitcnt vmcnt(0)
	v_add_f64 v[38:39], v[38:39], -v[14:15]
	v_mul_f64 v[32:33], v[32:33], v[38:39]
	v_add_u32_e32 v38, s2, v114
	v_ashrrev_i32_e32 v39, 31, v38
	scratch_store_dwordx2 off, v[38:39], off offset:608 ; 8-byte Folded Spill
	v_lshl_add_u64 v[38:39], v[38:39], 3, s[4:5]
	global_load_dwordx2 v[38:39], v[38:39], off
	s_waitcnt vmcnt(0)
	v_add_f64 v[38:39], v[38:39], -v[14:15]
	v_fmac_f64_e32 v[32:33], v[30:31], v[38:39]
	v_mul_f64 v[30:31], v[70:71], v[96:97]
	v_mul_f64 v[38:39], v[96:97], v[30:31]
	v_fmac_f64_e32 v[18:19], v[94:95], v[38:39]
	v_fma_f64 v[30:31], v[6:7], v[58:59], v[16:17]
	v_fmac_f64_e32 v[18:19], 0x40080000, v[30:31]
	v_add_u32_e32 v30, s2, v116
	v_ashrrev_i32_e32 v31, 31, v30
	scratch_store_dwordx2 off, v[30:31], off offset:616 ; 8-byte Folded Spill
	v_lshl_add_u64 v[30:31], v[30:31], 3, s[4:5]
	global_load_dwordx2 v[30:31], v[30:31], off
	v_fmac_f64_e32 v[40:41], v[18:19], v[36:37]
	v_fmac_f64_e32 v[16:17], v[94:95], v[38:39]
	;; [unrolled: 1-line block ×3, first 2 shown]
	scratch_store_dwordx2 off, v[106:107], off offset:488 ; 8-byte Folded Spill
	v_fmac_f64_e32 v[40:41], v[20:21], v[34:35]
	v_div_fixup_f64 v[106:107], v[8:9], v[4:5], 1.0
	v_mul_f64 v[8:9], v[22:23], s[12:13]
	scratch_store_dwordx2 off, v[58:59], off offset:720 ; 8-byte Folded Spill
	scratch_store_dwordx2 off, v[116:117], off offset:544 ; 8-byte Folded Spill
	v_div_fixup_f64 v[58:59], v[10:11], v[0:1], 1.0
	v_fma_f64 v[116:117], v[106:107], v[8:9], 0
	v_mul_f64 v[8:9], v[40:41], s[12:13]
	v_fmac_f64_e32 v[116:117], v[58:59], v[8:9]
	v_mul_f64 v[8:9], v[66:67], s[12:13]
	v_fma_f64 v[82:83], v[106:107], v[8:9], 0
	v_mul_f64 v[8:9], v[42:43], s[12:13]
	v_fmac_f64_e32 v[82:83], v[58:59], v[8:9]
	v_mul_f64 v[8:9], v[12:13], s[12:13]
	v_fma_f64 v[92:93], v[106:107], v[8:9], 0
	scratch_store_dwordx2 off, v[114:115], off offset:528 ; 8-byte Folded Spill
	scratch_store_dwordx2 off, v[70:71], off offset:360 ; 8-byte Folded Spill
	;; [unrolled: 1-line block ×4, first 2 shown]
	v_mul_f64 v[98:99], v[58:59], v[106:107]
	s_waitcnt vmcnt(7)
	v_add_f64 v[30:31], v[30:31], -v[14:15]
	v_fmac_f64_e32 v[32:33], v[18:19], v[30:31]
	v_add_u32_e32 v18, s2, v118
	v_ashrrev_i32_e32 v19, 31, v18
	scratch_store_dwordx2 off, v[18:19], off offset:632 ; 8-byte Folded Spill
	v_lshl_add_u64 v[18:19], v[18:19], 3, s[4:5]
	global_load_dwordx2 v[18:19], v[18:19], off
	s_nop 0
	scratch_store_dwordx2 off, v[94:95], off offset:368 ; 8-byte Folded Spill
	scratch_store_dwordx2 off, v[38:39], off offset:744 ; 8-byte Folded Spill
	s_waitcnt vmcnt(2)
	v_add_f64 v[14:15], v[18:19], -v[14:15]
	v_fmac_f64_e32 v[32:33], v[20:21], v[14:15]
	v_mul_f64 v[8:9], v[32:33], s[12:13]
	s_load_dwordx8 s[12:19], s[0:1], 0x60
	v_fmac_f64_e32 v[92:93], v[58:59], v[8:9]
	v_mov_b32_e32 v18, v48
	s_waitcnt lgkmcnt(0)
	v_lshl_add_u64 v[8:9], s[12:13], 0, v[28:29]
	global_load_dwordx2 v[8:9], v[8:9], off
	s_load_dwordx2 s[12:13], s[0:1], 0x80
	s_waitcnt vmcnt(0)
	scratch_store_dwordx2 off, v[8:9], off offset:288 ; 8-byte Folded Spill
	v_subrev_u32_e32 v8, s28, v63
	v_mul_lo_u32 v8, s38, v8
	v_add3_u32 v84, v8, s38, v62
	v_subrev_u32_e32 v8, s28, v68
	v_mul_lo_u32 v8, s38, v8
	v_add3_u32 v85, v8, s38, v62
	v_add_u32_e32 v8, s31, v69
	v_subrev_u32_e32 v8, s28, v8
	v_mul_lo_u32 v8, s38, v8
	v_add3_u32 v86, v8, s38, v62
	v_add_u32_e32 v8, s43, v45
	v_subrev_u32_e32 v8, s44, v8
	v_add_u32_e32 v8, 2, v8
	v_mul_lo_u32 v8, v8, s38
	v_add3_u32 v12, v62, v8, s33
	v_add_u32_e32 v8, s22, v45
	v_subrev_u32_e32 v8, s44, v8
	v_add_u32_e32 v8, 2, v8
	v_mul_lo_u32 v8, v8, s38
	v_add3_u32 v13, v62, v8, s33
	v_add_u32_e32 v8, s39, v45
	v_subrev_u32_e32 v8, s44, v8
	v_add_u32_e32 v8, 2, v8
	v_mul_lo_u32 v8, v8, s38
	v_add3_u32 v14, v62, v8, s33
	v_add_u32_e32 v8, s29, v44
	s_mul_i32 s22, s30, s40
	v_subrev_u32_e32 v8, s22, v8
	v_subrev_u32_e32 v8, s44, v8
	v_add_u32_e32 v8, 2, v8
	v_mul_lo_u32 v8, v8, s38
	v_add3_u32 v15, v62, v8, s33
	v_subrev_u32_e32 v8, s22, v69
	v_subrev_u32_e32 v8, s28, v8
	v_mul_lo_u32 v8, s38, v8
	v_add3_u32 v87, v8, s38, v62
.LBB0_2:                                ; =>This Loop Header: Depth=1
                                        ;     Child Loop BB0_3 Depth 2
	s_movk_i32 s29, 0xfe80
	v_add_u32_e32 v19, s33, v87
	v_mov_b32_e32 v60, v15
	v_mov_b32_e32 v61, v14
	;; [unrolled: 1-line block ×4, first 2 shown]
	v_add_u32_e32 v66, s33, v86
	v_add_u32_e32 v67, s33, v85
	;; [unrolled: 1-line block ×3, first 2 shown]
	v_mov_b64_e32 v[16:17], 0
	v_mov_b64_e32 v[30:31], 0
	;; [unrolled: 1-line block ×6, first 2 shown]
.LBB0_3:                                ;   Parent Loop BB0_2 Depth=1
                                        ; =>  This Inner Loop Header: Depth=2
	v_add_u32_e32 v10, s41, v19
	v_add_u32_e32 v38, s41, v70
	;; [unrolled: 1-line block ×3, first 2 shown]
	v_ashrrev_i32_e32 v11, 31, v10
	v_ashrrev_i32_e32 v39, 31, v38
	;; [unrolled: 1-line block ×3, first 2 shown]
	v_lshlrev_b64 v[10:11], 3, v[10:11]
	v_lshl_add_u64 v[38:39], v[38:39], 3, s[10:11]
	v_lshl_add_u64 v[42:43], v[42:43], 3, s[10:11]
	;; [unrolled: 1-line block ×4, first 2 shown]
	global_load_dwordx2 v[38:39], v[38:39], off
	v_add_u32_e32 v72, s41, v66
	global_load_dwordx2 v[42:43], v[42:43], off
	v_ashrrev_i32_e32 v73, 31, v72
	global_load_dwordx2 v[20:21], v[20:21], off
	v_add_u32_e32 v71, s29, v18
	global_load_dwordx2 v[10:11], v[10:11], off
	v_lshl_add_u64 v[72:73], v[72:73], 3, s[10:11]
	v_add_u32_e32 v8, 0x17f, v71
	global_load_dwordx2 v[72:73], v[72:73], off
	v_ashrrev_i32_e32 v9, 31, v8
	v_lshl_add_u64 v[8:9], v[8:9], 3, s[16:17]
	global_load_dwordx2 v[8:9], v[8:9], off
	s_addk_i32 s29, 0x60
	v_add_u32_e32 v70, s42, v70
	v_add_u32_e32 v67, s42, v67
	;; [unrolled: 1-line block ×4, first 2 shown]
	s_cmp_eq_u32 s29, 0
	s_waitcnt vmcnt(4)
	v_mul_f64 v[44:45], v[4:5], v[42:43]
	v_mul_f64 v[44:45], v[42:43], v[44:45]
	;; [unrolled: 1-line block ×3, first 2 shown]
	s_waitcnt vmcnt(2)
	v_fma_f64 v[22:23], 2.0, v[20:21], v[10:11]
	v_mul_f64 v[40:41], v[22:23], v[38:39]
	v_mul_f64 v[40:41], v[0:1], v[40:41]
	s_waitcnt vmcnt(1)
	v_fma_f64 v[76:77], v[72:73], v[72:73], v[44:45]
	v_mul_f64 v[40:41], v[38:39], v[40:41]
	v_mul_f64 v[76:77], v[20:21], v[76:77]
	v_fmac_f64_e32 v[76:77], v[0:1], v[40:41]
	s_waitcnt vmcnt(0)
	v_fmac_f64_e32 v[36:37], v[8:9], v[76:77]
	v_mul_f64 v[76:77], v[0:1], v[38:39]
	v_mul_f64 v[74:75], v[72:73], v[72:73]
	;; [unrolled: 1-line block ×5, first 2 shown]
	v_fmac_f64_e32 v[74:75], v[0:1], v[76:77]
	v_mul_f64 v[40:41], v[42:43], v[40:41]
	v_mul_f64 v[74:75], v[20:21], v[74:75]
	v_fmac_f64_e32 v[44:45], v[0:1], v[76:77]
	v_fmac_f64_e32 v[74:75], v[4:5], v[40:41]
	v_mul_f64 v[22:23], v[22:23], v[72:73]
	v_mul_f64 v[40:41], v[20:21], v[44:45]
	v_fmac_f64_e32 v[40:41], v[72:73], v[22:23]
	v_add_f64 v[10:11], v[20:21], v[10:11]
	v_fmac_f64_e32 v[30:31], v[8:9], v[74:75]
	v_fmac_f64_e32 v[16:17], v[8:9], v[40:41]
	v_mul_f64 v[8:9], v[8:9], v[10:11]
	v_mul_f64 v[10:11], v[38:39], v[8:9]
	;; [unrolled: 1-line block ×3, first 2 shown]
	v_fmac_f64_e32 v[28:29], v[8:9], v[72:73]
	v_add_u32_e32 v8, 0x1af, v71
	v_ashrrev_i32_e32 v9, 31, v8
	v_lshl_add_u64 v[8:9], v[8:9], 3, s[16:17]
	v_fmac_f64_e32 v[32:33], v[42:43], v[10:11]
	global_load_dwordx2 v[38:39], v[8:9], off
	v_add_u32_e32 v8, s41, v60
	v_add_u32_e32 v22, s41, v65
	;; [unrolled: 1-line block ×3, first 2 shown]
	v_ashrrev_i32_e32 v9, 31, v8
	v_ashrrev_i32_e32 v23, 31, v22
	;; [unrolled: 1-line block ×3, first 2 shown]
	v_fmac_f64_e32 v[34:35], v[10:11], v[72:73]
	v_lshlrev_b64 v[10:11], 3, v[8:9]
	v_lshl_add_u64 v[22:23], v[22:23], 3, s[10:11]
	v_lshl_add_u64 v[42:43], v[42:43], 3, s[10:11]
	;; [unrolled: 1-line block ×4, first 2 shown]
	global_load_dwordx2 v[22:23], v[22:23], off
	v_add_u32_e32 v72, s41, v61
	global_load_dwordx2 v[42:43], v[42:43], off
	v_ashrrev_i32_e32 v73, 31, v72
	global_load_dwordx2 v[8:9], v[8:9], off
	v_lshl_add_u64 v[72:73], v[72:73], 3, s[10:11]
	global_load_dwordx2 v[10:11], v[10:11], off
	v_add_u32_e32 v65, s42, v65
	global_load_dwordx2 v[72:73], v[72:73], off
	v_add_u32_e32 v64, s42, v64
	v_add_u32_e32 v61, s42, v61
	;; [unrolled: 1-line block ×3, first 2 shown]
	s_waitcnt vmcnt(3)
	v_mul_f64 v[44:45], v[4:5], v[42:43]
	v_mul_f64 v[44:45], v[42:43], v[44:45]
	v_mul_f64 v[44:45], v[4:5], v[44:45]
	s_waitcnt vmcnt(1)
	v_fma_f64 v[20:21], 2.0, v[8:9], v[10:11]
	v_mul_f64 v[40:41], v[20:21], v[22:23]
	v_mul_f64 v[40:41], v[0:1], v[40:41]
	s_waitcnt vmcnt(0)
	v_fma_f64 v[76:77], v[72:73], v[72:73], v[44:45]
	v_mul_f64 v[40:41], v[22:23], v[40:41]
	v_mul_f64 v[76:77], v[8:9], v[76:77]
	v_fmac_f64_e32 v[76:77], v[0:1], v[40:41]
	v_fmac_f64_e32 v[36:37], v[38:39], v[76:77]
	v_mul_f64 v[76:77], v[0:1], v[22:23]
	v_mul_f64 v[74:75], v[72:73], v[72:73]
	;; [unrolled: 1-line block ×5, first 2 shown]
	v_fmac_f64_e32 v[74:75], v[0:1], v[76:77]
	v_mul_f64 v[40:41], v[42:43], v[40:41]
	v_mul_f64 v[74:75], v[8:9], v[74:75]
	v_fmac_f64_e32 v[44:45], v[0:1], v[76:77]
	v_fmac_f64_e32 v[74:75], v[4:5], v[40:41]
	v_mul_f64 v[40:41], v[8:9], v[44:45]
	v_add_f64 v[8:9], v[8:9], v[10:11]
	v_mul_f64 v[20:21], v[20:21], v[72:73]
	v_mul_f64 v[8:9], v[38:39], v[8:9]
	v_fmac_f64_e32 v[40:41], v[72:73], v[20:21]
	v_mul_f64 v[10:11], v[22:23], v[8:9]
	v_mul_f64 v[8:9], v[8:9], v[42:43]
	v_fmac_f64_e32 v[30:31], v[38:39], v[74:75]
	v_fmac_f64_e32 v[16:17], v[38:39], v[40:41]
	;; [unrolled: 1-line block ×5, first 2 shown]
	s_cbranch_scc0 .LBB0_3
; %bb.4:                                ;   in Loop: Header=BB0_2 Depth=1
	s_mul_i32 s29, s37, s21
	v_add_u32_e32 v10, s29, v27
	v_ashrrev_i32_e32 v11, 31, v10
	v_lshl_add_u64 v[20:21], v[10:11], 3, s[4:5]
	v_add_u32_e32 v10, s2, v10
	v_ashrrev_i32_e32 v11, 31, v10
	v_lshl_add_u64 v[22:23], v[10:11], 3, s[4:5]
	v_add_u32_e32 v10, s2, v10
	global_load_dwordx2 v[20:21], v[20:21], off
	v_ashrrev_i32_e32 v11, 31, v10
	global_load_dwordx2 v[22:23], v[22:23], off
	v_lshl_add_u64 v[10:11], v[10:11], 3, s[4:5]
	global_load_dwordx2 v[10:11], v[10:11], off
	v_mul_f64 v[8:9], v[98:99], v[36:37]
	v_mul_f64 v[30:31], v[98:99], v[30:31]
	;; [unrolled: 1-line block ×3, first 2 shown]
	s_add_i32 s37, s37, 1
	v_add_u32_e32 v18, 6, v18
	s_cmp_eq_u32 s37, 9
	s_waitcnt vmcnt(1)
	v_mul_f64 v[36:37], v[32:33], v[22:23]
	v_fmac_f64_e32 v[36:37], v[8:9], v[20:21]
	v_mul_f64 v[8:9], v[106:107], v[34:35]
	v_mul_f64 v[30:31], v[30:31], v[22:23]
	;; [unrolled: 1-line block ×3, first 2 shown]
	s_waitcnt vmcnt(0)
	v_fmac_f64_e32 v[36:37], v[8:9], v[10:11]
	v_fmac_f64_e32 v[30:31], v[32:33], v[20:21]
	;; [unrolled: 1-line block ×3, first 2 shown]
	v_mul_f64 v[8:9], v[98:99], v[16:17]
	v_fmac_f64_e32 v[30:31], v[28:29], v[10:11]
	v_fmac_f64_e32 v[22:23], v[8:9], v[10:11]
	v_add_f64 v[116:117], v[116:117], v[36:37]
	v_add_f64 v[82:83], v[82:83], v[30:31]
	;; [unrolled: 1-line block ×3, first 2 shown]
	s_cbranch_scc0 .LBB0_2
; %bb.5:
	scratch_store_dword off, v87, off offset:692 ; 4-byte Folded Spill
	scratch_store_dword off, v86, off offset:688 ; 4-byte Folded Spill
	;; [unrolled: 1-line block ×4, first 2 shown]
	scratch_store_dwordx2 off, v[58:59], off offset:416 ; 8-byte Folded Spill
	scratch_load_dword v8, off, off offset:64 ; 4-byte Folded Reload
	v_add_u32_e32 v21, s36, v49
	v_ashrrev_i32_e32 v49, 31, v48
	v_add_u32_e32 v23, s36, v47
	v_add_u32_e32 v22, s36, v24
	;; [unrolled: 1-line block ×10, first 2 shown]
	v_mov_b64_e32 v[84:85], 0
	s_mov_b32 s16, -1
	v_mov_b64_e32 v[66:67], 0
	v_mov_b64_e32 v[110:111], 0
	;; [unrolled: 1-line block ×11, first 2 shown]
	s_waitcnt vmcnt(0)
	v_add_u32_e32 v20, s36, v8
	s_waitcnt lgkmcnt(0)
	v_lshl_add_u64 v[8:9], v[48:49], 3, s[12:13]
	global_load_dwordx2 v[8:9], v[8:9], off offset:-8
	s_add_i32 s12, s24, s21
	v_add_u32_e32 v30, v53, v20
	v_add_u32_e32 v34, v54, v20
	s_waitcnt vmcnt(0)
	scratch_store_dwordx2 off, v[8:9], off offset:696 ; 8-byte Folded Spill
	v_add_u32_e32 v8, s21, v27
	v_ashrrev_i32_e32 v9, 31, v8
	v_lshlrev_b64 v[8:9], 3, v[8:9]
	v_lshl_add_u64 v[10:11], s[6:7], 0, v[8:9]
	v_lshl_add_u64 v[8:9], s[8:9], 0, v[8:9]
	global_load_dwordx2 v[8:9], v[8:9], off
	v_add_u32_e32 v27, v55, v22
	global_load_dwordx2 v[10:11], v[10:11], off
	v_add_u32_e32 v22, v46, v22
	s_waitcnt vmcnt(1)
	scratch_store_dwordx2 off, v[8:9], off offset:712 ; 8-byte Folded Spill
	v_add_u32_e32 v8, s12, v26
	v_ashrrev_i32_e32 v9, 31, v8
	s_waitcnt vmcnt(1)
	scratch_store_dwordx2 off, v[10:11], off offset:704 ; 8-byte Folded Spill
	v_lshl_add_u64 v[10:11], v[8:9], 3, s[10:11]
	global_load_dwordx2 v[10:11], v[10:11], off
	v_add_u32_e32 v8, s2, v8
	v_ashrrev_i32_e32 v9, 31, v8
	v_lshl_add_u64 v[12:13], v[8:9], 3, s[10:11]
	v_add_u32_e32 v8, s2, v8
	v_ashrrev_i32_e32 v9, 31, v8
	v_lshl_add_u64 v[8:9], v[8:9], 3, s[10:11]
	s_mov_b32 s12, s21
	s_waitcnt vmcnt(0)
	scratch_store_dwordx2 off, v[10:11], off offset:736 ; 8-byte Folded Spill
	global_load_dwordx2 v[18:19], v[12:13], off
	s_nop 0
	global_load_dwordx2 v[8:9], v[8:9], off
	v_add_u32_e32 v10, v55, v23
	v_add_u32_e32 v16, s24, v10
	v_ashrrev_i32_e32 v17, 31, v16
	v_lshl_add_u64 v[16:17], v[16:17], 3, s[4:5]
	v_add_u32_e32 v11, v55, v20
	v_add_u32_e32 v23, v46, v23
	;; [unrolled: 1-line block ×3, first 2 shown]
	s_waitcnt vmcnt(0)
	scratch_store_dwordx2 off, v[8:9], off offset:728 ; 8-byte Folded Spill
	v_add_u32_e32 v8, s2, v26
	v_ashrrev_i32_e32 v9, 31, v8
	v_lshl_add_u64 v[12:13], v[8:9], 3, s[4:5]
	v_add_u32_e32 v8, s2, v8
	v_ashrrev_i32_e32 v9, 31, v8
	v_lshl_add_u64 v[14:15], v[8:9], 3, s[4:5]
	;; [unrolled: 3-line block ×3, first 2 shown]
	global_load_dwordx2 v[12:13], v[12:13], off
	s_nop 0
	global_load_dwordx2 v[8:9], v[8:9], off
	s_waitcnt vmcnt(1)
	scratch_store_dwordx2 off, v[12:13], off offset:760 ; 8-byte Folded Spill
	global_load_dwordx2 v[12:13], v[14:15], off
	s_waitcnt vmcnt(2)
	scratch_store_dwordx2 off, v[8:9], off offset:752 ; 8-byte Folded Spill
	global_load_dwordx2 v[8:9], v[16:17], off
	v_add_u32_e32 v16, s24, v29
	v_ashrrev_i32_e32 v17, 31, v16
	v_lshl_add_u64 v[16:17], v[16:17], 3, s[4:5]
	s_waitcnt vmcnt(0)
	scratch_store_dwordx2 off, v[8:9], off offset:64 ; 8-byte Folded Spill
	v_add_u32_e32 v8, s24, v11
	v_ashrrev_i32_e32 v9, 31, v8
	v_lshl_add_u64 v[8:9], v[8:9], 3, s[4:5]
	global_load_dwordx2 v[8:9], v[8:9], off
	v_add_u32_e32 v14, s24, v28
	scratch_store_dwordx2 off, v[12:13], off offset:768 ; 8-byte Folded Spill
	v_add_u32_e32 v12, s24, v27
	v_ashrrev_i32_e32 v13, 31, v12
	v_lshl_add_u64 v[12:13], v[12:13], 3, s[4:5]
	v_ashrrev_i32_e32 v15, 31, v14
	v_lshl_add_u64 v[14:15], v[14:15], 3, s[4:5]
	s_waitcnt vmcnt(1)
	scratch_store_dwordx2 off, v[8:9], off offset:80 ; 8-byte Folded Spill
	global_load_dwordx2 v[8:9], v[12:13], off
	v_add_u32_e32 v12, s24, v31
	v_ashrrev_i32_e32 v13, 31, v12
	v_lshl_add_u64 v[12:13], v[12:13], 3, s[4:5]
	s_waitcnt vmcnt(0)
	scratch_store_dwordx2 off, v[8:9], off offset:72 ; 8-byte Folded Spill
	global_load_dwordx2 v[58:59], v[14:15], off
	s_nop 0
	global_load_dwordx2 v[8:9], v[16:17], off
	v_add_u32_e32 v14, s24, v32
	v_ashrrev_i32_e32 v15, 31, v14
	v_lshl_add_u64 v[14:15], v[14:15], 3, s[4:5]
	v_add_u32_e32 v16, s24, v33
	v_ashrrev_i32_e32 v17, 31, v16
	v_lshl_add_u64 v[16:17], v[16:17], 3, s[4:5]
	s_waitcnt vmcnt(0)
	scratch_store_dwordx2 off, v[8:9], off offset:96 ; 8-byte Folded Spill
	v_add_u32_e32 v8, s24, v30
	v_ashrrev_i32_e32 v9, 31, v8
	v_lshl_add_u64 v[8:9], v[8:9], 3, s[4:5]
	global_load_dwordx2 v[8:9], v[8:9], off
	s_waitcnt vmcnt(0)
	scratch_store_dwordx2 off, v[8:9], off offset:128 ; 8-byte Folded Spill
	global_load_dwordx2 v[8:9], v[12:13], off
	v_add_u32_e32 v12, s24, v35
	v_ashrrev_i32_e32 v13, 31, v12
	v_lshl_add_u64 v[12:13], v[12:13], 3, s[4:5]
	s_waitcnt vmcnt(0)
	scratch_store_dwordx2 off, v[8:9], off offset:88 ; 8-byte Folded Spill
	global_load_dwordx2 v[8:9], v[14:15], off
	v_add_u32_e32 v14, s24, v36
	v_ashrrev_i32_e32 v15, 31, v14
	v_lshl_add_u64 v[14:15], v[14:15], 3, s[4:5]
	;; [unrolled: 6-line block ×3, first 2 shown]
	s_waitcnt vmcnt(0)
	scratch_store_dwordx2 off, v[8:9], off offset:776 ; 8-byte Folded Spill
	v_add_u32_e32 v8, s24, v34
	v_ashrrev_i32_e32 v9, 31, v8
	v_lshl_add_u64 v[8:9], v[8:9], 3, s[4:5]
	global_load_dwordx2 v[8:9], v[8:9], off
	s_waitcnt vmcnt(0)
	scratch_store_dwordx2 off, v[8:9], off offset:176 ; 8-byte Folded Spill
	global_load_dwordx2 v[8:9], v[12:13], off
	v_add_u32_e32 v12, s24, v22
	v_ashrrev_i32_e32 v13, 31, v12
	v_lshl_add_u64 v[12:13], v[12:13], 3, s[4:5]
	s_waitcnt vmcnt(0)
	scratch_store_dwordx2 off, v[8:9], off offset:136 ; 8-byte Folded Spill
	global_load_dwordx2 v[8:9], v[14:15], off
	v_add_u32_e32 v14, s24, v21
	v_ashrrev_i32_e32 v15, 31, v14
	v_lshl_add_u64 v[14:15], v[14:15], 3, s[4:5]
	;; [unrolled: 6-line block ×3, first 2 shown]
	s_waitcnt vmcnt(0)
	scratch_store_dwordx2 off, v[8:9], off offset:784 ; 8-byte Folded Spill
	v_add_u32_e32 v8, s24, v20
	v_ashrrev_i32_e32 v9, 31, v8
	v_lshl_add_u64 v[8:9], v[8:9], 3, s[4:5]
	global_load_dwordx2 v[8:9], v[8:9], off
	s_waitcnt vmcnt(0)
	scratch_store_dwordx2 off, v[8:9], off offset:224 ; 8-byte Folded Spill
	global_load_dwordx2 v[8:9], v[12:13], off
	v_add_u32_e32 v12, s2, v27
	v_ashrrev_i32_e32 v13, 31, v12
	v_lshl_add_u64 v[12:13], v[12:13], 3, s[4:5]
	v_ashrrev_i32_e32 v27, 31, v26
	s_waitcnt vmcnt(0)
	scratch_store_dwordx2 off, v[8:9], off offset:184 ; 8-byte Folded Spill
	global_load_dwordx2 v[8:9], v[14:15], off
	v_add_u32_e32 v14, s2, v28
	v_ashrrev_i32_e32 v15, 31, v14
	v_lshl_add_u64 v[14:15], v[14:15], 3, s[4:5]
	s_waitcnt vmcnt(0)
	scratch_store_dwordx2 off, v[8:9], off offset:168 ; 8-byte Folded Spill
	global_load_dwordx2 v[8:9], v[16:17], off
	v_add_u32_e32 v16, s2, v29
	v_ashrrev_i32_e32 v17, 31, v16
	v_lshl_add_u64 v[16:17], v[16:17], 3, s[4:5]
	s_waitcnt vmcnt(0)
	scratch_store_dwordx2 off, v[8:9], off offset:160 ; 8-byte Folded Spill
	v_add_u32_e32 v8, s2, v11
	v_ashrrev_i32_e32 v9, 31, v8
	v_lshl_add_u64 v[8:9], v[8:9], 3, s[4:5]
	global_load_dwordx2 v[8:9], v[8:9], off
	s_waitcnt vmcnt(0)
	scratch_store_dwordx2 off, v[8:9], off offset:208 ; 8-byte Folded Spill
	global_load_dwordx2 v[8:9], v[12:13], off
	v_add_u32_e32 v12, s2, v31
	v_ashrrev_i32_e32 v13, 31, v12
	v_lshl_add_u64 v[12:13], v[12:13], 3, s[4:5]
	s_waitcnt vmcnt(0)
	scratch_store_dwordx2 off, v[8:9], off offset:112 ; 8-byte Folded Spill
	global_load_dwordx2 v[8:9], v[14:15], off
	v_add_u32_e32 v14, s2, v32
	v_ashrrev_i32_e32 v15, 31, v14
	v_lshl_add_u64 v[14:15], v[14:15], 3, s[4:5]
	s_waitcnt vmcnt(0)
	scratch_store_dwordx2 off, v[8:9], off offset:144 ; 8-byte Folded Spill
	global_load_dwordx2 v[8:9], v[16:17], off
	v_add_u32_e32 v16, s2, v33
	v_ashrrev_i32_e32 v17, 31, v16
	v_lshl_add_u64 v[16:17], v[16:17], 3, s[4:5]
	s_waitcnt vmcnt(0)
	scratch_store_dwordx2 off, v[8:9], off offset:216 ; 8-byte Folded Spill
	v_add_u32_e32 v8, s2, v30
	v_ashrrev_i32_e32 v9, 31, v8
	v_lshl_add_u64 v[8:9], v[8:9], 3, s[4:5]
	global_load_dwordx2 v[8:9], v[8:9], off
	s_waitcnt vmcnt(0)
	scratch_store_dwordx2 off, v[8:9], off offset:232 ; 8-byte Folded Spill
	global_load_dwordx2 v[8:9], v[12:13], off
	v_add_u32_e32 v12, s2, v35
	v_ashrrev_i32_e32 v13, 31, v12
	v_lshl_add_u64 v[12:13], v[12:13], 3, s[4:5]
	;; [unrolled: 24-line block ×3, first 2 shown]
	s_waitcnt vmcnt(0)
	scratch_store_dwordx2 off, v[8:9], off offset:200 ; 8-byte Folded Spill
	global_load_dwordx2 v[8:9], v[14:15], off
	v_add_u32_e32 v14, s2, v21
	v_ashrrev_i32_e32 v15, 31, v14
	v_lshl_add_u64 v[14:15], v[14:15], 3, s[4:5]
	s_waitcnt vmcnt(0)
	scratch_store_dwordx2 off, v[8:9], off offset:256 ; 8-byte Folded Spill
	global_load_dwordx2 v[8:9], v[16:17], off
	s_waitcnt vmcnt(0)
	scratch_store_dwordx2 off, v[8:9], off offset:792 ; 8-byte Folded Spill
	v_add_u32_e32 v8, s2, v20
	v_ashrrev_i32_e32 v9, 31, v8
	v_lshl_add_u64 v[8:9], v[8:9], 3, s[4:5]
	global_load_dwordx2 v[24:25], v[8:9], off
	global_load_dwordx2 v[104:105], v[12:13], off
	;; [unrolled: 1-line block ×3, first 2 shown]
.LBB0_6:                                ; =>This Inner Loop Header: Depth=1
	s_ashr_i32 s13, s12, 31
	v_add_u32_e32 v8, s16, v48
	v_lshl_add_u64 v[16:17], s[12:13], 0, v[26:27]
	v_ashrrev_i32_e32 v9, 31, v8
	v_lshl_add_u64 v[12:13], v[16:17], 0, s[2:3]
	v_lshl_add_u64 v[8:9], v[8:9], 3, s[18:19]
	;; [unrolled: 1-line block ×3, first 2 shown]
	global_load_dwordx2 v[8:9], v[8:9], off
	s_add_i32 s16, s16, 6
	global_load_dwordx4 v[12:15], v[32:33], off offset:-16
	s_add_i32 s12, s12, s21
	s_cmp_eq_u32 s16, 47
	s_waitcnt vmcnt(0)
	v_fmac_f64_e32 v[112:113], v[8:9], v[12:13]
	v_lshl_add_u64 v[12:13], v[16:17], 0, s[24:25]
	v_lshl_add_u64 v[34:35], v[12:13], 3, s[4:5]
	global_load_dwordx4 v[20:23], v[34:35], off offset:-16
	v_lshl_add_u64 v[12:13], v[16:17], 0, s[34:35]
	v_fmac_f64_e32 v[124:125], v[8:9], v[14:15]
	s_waitcnt vmcnt(0)
	v_fmac_f64_e32 v[64:65], v[8:9], v[20:21]
	v_lshl_add_u64 v[20:21], v[12:13], 3, s[4:5]
	global_load_dwordx4 v[28:31], v[20:21], off offset:-16
	global_load_dwordx4 v[12:15], v[32:33], off offset:8
	v_fmac_f64_e32 v[90:91], v[8:9], v[22:23]
	global_load_dwordx4 v[20:23], v[20:21], off offset:8
	s_waitcnt vmcnt(2)
	v_fmac_f64_e32 v[74:75], v[8:9], v[28:29]
	s_waitcnt vmcnt(1)
	v_fmac_f64_e32 v[88:89], v[8:9], v[14:15]
	global_load_dwordx4 v[14:17], v[34:35], off offset:8
	v_fmac_f64_e32 v[110:111], v[8:9], v[30:31]
	v_fmac_f64_e32 v[70:71], v[8:9], v[12:13]
	s_waitcnt vmcnt(1)
	v_fmac_f64_e32 v[84:85], v[8:9], v[22:23]
	v_fmac_f64_e32 v[66:67], v[8:9], v[20:21]
	s_waitcnt vmcnt(0)
	v_fmac_f64_e32 v[114:115], v[8:9], v[16:17]
	v_fmac_f64_e32 v[60:61], v[8:9], v[14:15]
	s_cbranch_scc0 .LBB0_6
; %bb.7:
	v_lshl_add_u64 v[8:9], v[78:79], 3, s[10:11]
	global_load_dwordx4 v[20:23], v[8:9], off offset:8
	v_lshl_add_u64 v[12:13], v[80:81], 3, s[10:11]
	scratch_store_dwordx2 off, v[78:79], off offset:272 ; 8-byte Folded Spill
	scratch_store_dwordx2 off, v[80:81], off offset:280 ; 8-byte Folded Spill
	s_lshl_b32 s16, s2, 2
	s_ashr_i32 s17, s16, 31
	v_lshl_add_u64 v[14:15], v[50:51], 0, s[16:17]
	v_lshl_add_u64 v[14:15], v[14:15], 3, s[10:11]
	s_mul_i32 s3, s27, 3
	s_lshl_b32 s12, s26, 2
	s_not_b32 s13, s28
	s_mov_b32 s2, -1
	v_mov_b64_e32 v[118:119], 0
	v_mov_b64_e32 v[120:121], 0
	;; [unrolled: 1-line block ×10, first 2 shown]
	s_waitcnt vmcnt(2)
	scratch_store_dwordx4 off, v[20:23], off offset:800 ; 16-byte Folded Spill
	global_load_dwordx4 v[40:43], v[8:9], off offset:-16
	s_nop 0
	global_load_dwordx4 v[8:11], v[12:13], off offset:8
	s_waitcnt vmcnt(0)
	scratch_store_dwordx4 off, v[8:11], off offset:832 ; 16-byte Folded Spill
	global_load_dwordx4 v[44:47], v[12:13], off offset:-16
	s_nop 0
	global_load_dwordx4 v[8:11], v[14:15], off offset:8
	global_load_dwordx4 v[36:39], v[14:15], off offset:-16
	s_waitcnt vmcnt(1)
	scratch_store_dwordx4 off, v[8:11], off offset:816 ; 16-byte Folded Spill
	s_nop 1
	v_xad_u32 v8, s22, -1, v69
	v_subrev_u32_e32 v8, s28, v8
	v_mul_lo_u32 v8, v8, s38
	v_add_u32_e32 v9, v62, v8
	v_add_u32_e32 v10, s3, v9
	v_subrev_u32_e32 v10, s12, v10
	v_add_u32_e32 v49, 3, v10
	v_add_u32_e32 v10, s13, v63
	v_mul_lo_u32 v10, v10, s38
	v_add_u32_e32 v11, v62, v10
	v_add_u32_e32 v12, s3, v11
	v_subrev_u32_e32 v12, s12, v12
	v_add_u32_e32 v50, 3, v12
	v_add_u32_e32 v12, s13, v68
	v_mul_lo_u32 v12, v12, s38
	v_add_u32_e32 v13, v62, v12
	v_add_u32_e32 v14, s3, v13
	v_subrev_u32_e32 v14, s12, v14
	s_lshl_b32 s3, s27, 2
	v_add_u32_e32 v51, 3, v14
	v_add_u32_e32 v14, s3, v9
	s_mul_i32 s12, s26, 5
	v_subrev_u32_e32 v14, s12, v14
	v_add_u32_e32 v72, 4, v14
	v_add_u32_e32 v14, s3, v11
	v_subrev_u32_e32 v14, s12, v14
	v_add_u32_e32 v73, 4, v14
	v_add_u32_e32 v14, s3, v13
	s_add_i32 s3, s23, s20
	v_subrev_u32_e32 v14, s12, v14
	s_add_i32 s3, s3, s27
	v_add_u32_e32 v100, 4, v14
	v_add_u32_e32 v14, s3, v52
	;; [unrolled: 1-line block ×3, first 2 shown]
	s_lshl_b32 s3, s26, 1
	v_subrev_u32_e32 v8, s3, v8
	v_add_u32_e32 v101, 1, v8
	v_add_u32_e32 v8, v14, v10
	v_subrev_u32_e32 v8, s3, v8
	v_add_u32_e32 v94, 1, v8
	v_add_u32_e32 v8, v14, v12
	v_subrev_u32_e32 v8, s3, v8
	v_add_u32_e32 v95, 1, v8
	v_subrev_u32_e32 v96, s26, v9
	v_subrev_u32_e32 v97, s26, v11
	;; [unrolled: 1-line block ×3, first 2 shown]
	v_mov_b32_e32 v8, v62
	v_mov_b32_e32 v9, v97
	v_mov_b32_e32 v12, v96
	v_mov_b32_e32 v13, v95
	v_mov_b32_e32 v14, v94
	v_mov_b32_e32 v15, v101
	v_mov_b32_e32 v20, v100
	v_mov_b32_e32 v21, v73
	v_mov_b32_e32 v22, v72
	v_mov_b32_e32 v23, v51
	v_mov_b32_e32 v63, v50
	v_mov_b32_e32 v78, v49
	v_mov_b64_e32 v[68:69], 0
	v_mov_b64_e32 v[52:53], 0
.LBB0_8:                                ; =>This Inner Loop Header: Depth=1
	v_add_u32_e32 v16, s2, v48
	v_add_u32_e32 v10, s33, v12
	v_ashrrev_i32_e32 v17, 31, v16
	v_ashrrev_i32_e32 v11, 31, v10
	v_lshl_add_u64 v[16:17], v[16:17], 3, s[18:19]
	v_lshl_add_u64 v[10:11], v[10:11], 3, s[4:5]
	global_load_dwordx2 v[16:17], v[16:17], off
	s_add_i32 s2, s2, 6
	global_load_dwordx2 v[10:11], v[10:11], off
	v_add_u32_e32 v12, s21, v12
	s_cmp_eq_u32 s2, 47
	s_waitcnt vmcnt(0)
	v_fmac_f64_e32 v[52:53], v[16:17], v[10:11]
	v_add_u32_e32 v10, s33, v9
	v_ashrrev_i32_e32 v11, 31, v10
	v_lshl_add_u64 v[10:11], v[10:11], 3, s[4:5]
	global_load_dwordx2 v[10:11], v[10:11], off
	v_add_u32_e32 v9, s21, v9
	s_waitcnt vmcnt(0)
	v_fmac_f64_e32 v[76:77], v[16:17], v[10:11]
	v_add_u32_e32 v10, s33, v8
	v_ashrrev_i32_e32 v11, 31, v10
	v_lshl_add_u64 v[10:11], v[10:11], 3, s[4:5]
	global_load_dwordx2 v[10:11], v[10:11], off
	v_add_u32_e32 v8, s21, v8
	;; [unrolled: 7-line block ×11, first 2 shown]
	s_waitcnt vmcnt(0)
	v_fmac_f64_e32 v[120:121], v[16:17], v[10:11]
	s_cbranch_scc0 .LBB0_8
; %bb.9:
	scratch_load_dwordx2 v[8:9], off, off offset:80 ; 8-byte Folded Reload
	scratch_load_dwordx2 v[10:11], off, off offset:64 ; 8-byte Folded Reload
	s_mov_b32 s2, 0x55555555
	s_mov_b32 s3, 0x3fb55555
	;; [unrolled: 1-line block ×4, first 2 shown]
	v_add_f64 v[22:23], v[104:105], -v[56:57]
	s_waitcnt vmcnt(0)
	v_add_f64 v[8:9], v[10:11], -v[8:9]
	scratch_load_dwordx2 v[10:11], off, off offset:72 ; 8-byte Folded Reload
	v_mul_f64 v[8:9], v[8:9], s[2:3]
	s_waitcnt vmcnt(0)
	v_add_f64 v[12:13], v[10:11], -v[58:59]
	v_fma_f64 v[8:9], v[12:13], s[12:13], -v[8:9]
	scratch_load_dwordx2 v[10:11], off, off offset:128 ; 8-byte Folded Reload
	scratch_load_dwordx2 v[12:13], off, off offset:96 ; 8-byte Folded Reload
	s_waitcnt vmcnt(0)
	v_add_f64 v[12:13], v[12:13], -v[10:11]
	scratch_load_dwordx2 v[10:11], off, off offset:104 ; 8-byte Folded Reload
	scratch_load_dwordx2 v[14:15], off, off offset:88 ; 8-byte Folded Reload
	v_mul_f64 v[12:13], v[12:13], s[2:3]
	s_waitcnt vmcnt(0)
	v_add_f64 v[14:15], v[14:15], -v[10:11]
	scratch_load_dwordx2 v[10:11], off, off offset:672 ; 8-byte Folded Reload
	v_fma_f64 v[12:13], v[14:15], s[12:13], -v[12:13]
	s_waitcnt vmcnt(0)
	v_mul_f64 v[12:13], v[10:11], v[12:13]
	scratch_load_dwordx2 v[10:11], off, off offset:744 ; 8-byte Folded Reload
	s_waitcnt vmcnt(0)
	v_fma_f64 v[8:9], v[10:11], v[8:9], -v[12:13]
	scratch_store_dwordx2 off, v[8:9], off offset:672 ; 8-byte Folded Spill
	scratch_load_dwordx2 v[32:33], off, off offset:776 ; 8-byte Folded Reload
	s_nop 0
	scratch_load_dwordx2 v[8:9], off, off offset:176 ; 8-byte Folded Reload
	scratch_load_dwordx2 v[10:11], off, off offset:120 ; 8-byte Folded Reload
	;; [unrolled: 1-line block ×3, first 2 shown]
	s_waitcnt vmcnt(2)
	v_add_f64 v[8:9], v[32:33], -v[8:9]
	s_waitcnt vmcnt(0)
	v_add_f64 v[12:13], v[12:13], -v[10:11]
	scratch_load_dwordx2 v[16:17], off, off offset:784 ; 8-byte Folded Reload
	scratch_load_dwordx2 v[10:11], off, off offset:224 ; 8-byte Folded Reload
	v_mul_f64 v[8:9], v[8:9], s[2:3]
	v_fma_f64 v[8:9], v[12:13], s[12:13], -v[8:9]
	s_waitcnt vmcnt(0)
	v_add_f64 v[12:13], v[16:17], -v[10:11]
	scratch_load_dwordx2 v[10:11], off, off offset:168 ; 8-byte Folded Reload
	scratch_load_dwordx2 v[14:15], off, off offset:184 ; 8-byte Folded Reload
	v_mul_f64 v[12:13], v[12:13], s[2:3]
	s_waitcnt vmcnt(0)
	v_add_f64 v[14:15], v[14:15], -v[10:11]
	scratch_load_dwordx2 v[10:11], off, off offset:664 ; 8-byte Folded Reload
	v_fma_f64 v[12:13], v[14:15], s[12:13], -v[12:13]
	s_waitcnt vmcnt(0)
	v_mul_f64 v[12:13], v[10:11], v[12:13]
	scratch_load_dwordx2 v[10:11], off, off offset:720 ; 8-byte Folded Reload
	s_waitcnt vmcnt(0)
	v_fma_f64 v[8:9], v[10:11], v[8:9], -v[12:13]
	scratch_store_dwordx2 off, v[8:9], off offset:664 ; 8-byte Folded Spill
	scratch_load_dwordx2 v[8:9], off, off offset:208 ; 8-byte Folded Reload
	s_nop 0
	scratch_load_dwordx2 v[10:11], off, off offset:160 ; 8-byte Folded Reload
	s_waitcnt vmcnt(0)
	v_add_f64 v[8:9], v[10:11], -v[8:9]
	scratch_load_dwordx2 v[10:11], off, off offset:144 ; 8-byte Folded Reload
	scratch_load_dwordx2 v[12:13], off, off offset:112 ; 8-byte Folded Reload
	v_mul_f64 v[8:9], v[8:9], s[2:3]
	s_waitcnt vmcnt(0)
	v_add_f64 v[14:15], v[12:13], -v[10:11]
	scratch_load_dwordx2 v[10:11], off, off offset:232 ; 8-byte Folded Reload
	scratch_load_dwordx2 v[12:13], off, off offset:216 ; 8-byte Folded Reload
	v_fma_f64 v[8:9], v[14:15], s[12:13], -v[8:9]
	s_waitcnt vmcnt(0)
	v_add_f64 v[14:15], v[12:13], -v[10:11]
	scratch_load_dwordx2 v[10:11], off, off offset:192 ; 8-byte Folded Reload
	scratch_load_dwordx2 v[12:13], off, off offset:152 ; 8-byte Folded Reload
	v_mul_f64 v[14:15], v[14:15], s[2:3]
	s_waitcnt vmcnt(0)
	v_add_f64 v[20:21], v[12:13], -v[10:11]
	scratch_load_dwordx2 v[10:11], off, off offset:48 ; 8-byte Folded Reload
	scratch_load_dwordx2 v[12:13], off, off offset:16 ; 8-byte Folded Reload
	v_fma_f64 v[14:15], v[20:21], s[12:13], -v[14:15]
	s_waitcnt vmcnt(0)
	v_mul_f64 v[20:21], v[10:11], v[12:13]
	v_mul_f64 v[20:21], v[10:11], v[20:21]
	scratch_load_dwordx2 v[10:11], off, off offset:56 ; 8-byte Folded Reload
	scratch_load_dwordx2 v[12:13], off, off offset:40 ; 8-byte Folded Reload
	v_mul_f64 v[14:15], v[20:21], v[14:15]
	s_waitcnt vmcnt(0)
	v_mul_f64 v[20:21], v[10:11], v[12:13]
	v_mul_f64 v[20:21], v[10:11], v[20:21]
	v_fma_f64 v[8:9], v[20:21], v[8:9], -v[14:15]
	scratch_store_dwordx2 off, v[8:9], off offset:720 ; 8-byte Folded Spill
	scratch_load_dwordx2 v[8:9], off, off offset:248 ; 8-byte Folded Reload
	s_nop 0
	scratch_load_dwordx2 v[10:11], off, off offset:240 ; 8-byte Folded Reload
	s_waitcnt vmcnt(0)
	v_add_f64 v[14:15], v[10:11], -v[8:9]
	scratch_load_dwordx2 v[8:9], off, off offset:256 ; 8-byte Folded Reload
	scratch_load_dwordx2 v[10:11], off, off offset:200 ; 8-byte Folded Reload
	;; [unrolled: 1-line block ×3, first 2 shown]
	v_mul_f64 v[14:15], v[14:15], s[2:3]
	scratch_store_dwordx2 off, v[24:25], off offset:864 ; 8-byte Folded Spill
	scratch_store_dwordx2 off, v[56:57], off offset:848 ; 8-byte Folded Spill
	;; [unrolled: 1-line block ×3, first 2 shown]
	s_waitcnt vmcnt(4)
	v_add_f64 v[20:21], v[10:11], -v[8:9]
	scratch_load_dwordx2 v[8:9], off, off offset:32 ; 8-byte Folded Reload
	scratch_load_dwordx2 v[10:11], off, off offset:8 ; 8-byte Folded Reload
	v_fma_f64 v[14:15], v[20:21], s[12:13], -v[14:15]
	s_waitcnt vmcnt(5)
	v_add_f64 v[20:21], v[12:13], -v[24:25]
	v_mul_f64 v[20:21], v[20:21], s[2:3]
	v_fma_f64 v[20:21], v[22:23], s[12:13], -v[20:21]
	s_waitcnt vmcnt(0)
	v_mul_f64 v[22:23], v[8:9], v[10:11]
	v_mul_f64 v[22:23], v[8:9], v[22:23]
	scratch_load_dwordx2 v[8:9], off, off   ; 8-byte Folded Reload
	scratch_load_dwordx2 v[10:11], off, off offset:24 ; 8-byte Folded Reload
	v_mul_f64 v[20:21], v[22:23], v[20:21]
	scratch_store_dwordx2 off, v[58:59], off offset:872 ; 8-byte Folded Spill
	scratch_load_dwordx4 v[56:59], off, off offset:400 ; 16-byte Folded Reload
	s_waitcnt vmcnt(2)
	v_mul_f64 v[22:23], v[8:9], v[10:11]
	v_mul_f64 v[22:23], v[8:9], v[22:23]
	v_fma_f64 v[8:9], v[22:23], v[14:15], -v[20:21]
	scratch_load_dwordx2 v[24:25], off, off offset:424 ; 8-byte Folded Reload
	scratch_load_dwordx4 v[26:29], off, off offset:512 ; 16-byte Folded Reload
	scratch_load_dwordx2 v[30:31], off, off offset:584 ; 8-byte Folded Reload
	scratch_load_dwordx2 v[10:11], off, off offset:576 ; 8-byte Folded Reload
	s_waitcnt vmcnt(3)
	v_mul_f64 v[22:23], v[24:25], v[44:45]
	scratch_store_dwordx2 off, v[8:9], off offset:744 ; 8-byte Folded Spill
	scratch_load_dwordx2 v[8:9], off, off offset:656 ; 8-byte Folded Reload
	v_mul_f64 v[22:23], v[56:57], v[22:23]
	v_mul_f64 v[22:23], v[64:65], v[22:23]
	s_waitcnt vmcnt(0)
	v_mul_f64 v[14:15], v[8:9], v[40:41]
	v_mul_f64 v[14:15], v[56:57], v[14:15]
	;; [unrolled: 1-line block ×4, first 2 shown]
	v_fmac_f64_e32 v[8:9], v[112:113], v[14:15]
	v_mul_f64 v[14:15], v[24:25], v[36:37]
	v_mul_f64 v[14:15], v[56:57], v[14:15]
	v_fmac_f64_e32 v[8:9], v[74:75], v[14:15]
	scratch_store_dwordx2 off, v[8:9], off offset:656 ; 8-byte Folded Spill
	scratch_load_dwordx2 v[8:9], off, off offset:648 ; 8-byte Folded Reload
	v_mul_f64 v[40:41], v[10:11], v[40:41]
	v_mul_f64 v[36:37], v[10:11], v[36:37]
	s_waitcnt vmcnt(0)
	v_mul_f64 v[14:15], v[8:9], v[42:43]
	scratch_load_dwordx2 v[8:9], off, off offset:432 ; 8-byte Folded Reload
	v_mul_f64 v[14:15], v[58:59], v[14:15]
	v_mul_f64 v[14:15], v[28:29], v[14:15]
	;; [unrolled: 1-line block ×3, first 2 shown]
	s_waitcnt vmcnt(0)
	v_mul_f64 v[78:79], v[8:9], v[46:47]
	v_mul_f64 v[78:79], v[58:59], v[78:79]
	v_mul_f64 v[78:79], v[90:91], v[78:79]
	v_mul_f64 v[78:79], v[4:5], v[78:79]
	v_fmac_f64_e32 v[78:79], v[124:125], v[14:15]
	v_mul_f64 v[14:15], v[10:11], v[44:45]
	v_mul_f64 v[44:45], v[30:31], v[46:47]
	v_mul_f64 v[46:47], v[30:31], v[38:39]
	v_mul_f64 v[38:39], v[8:9], v[38:39]
	v_mul_f64 v[38:39], v[58:59], v[38:39]
	v_fmac_f64_e32 v[78:79], v[110:111], v[38:39]
	v_mul_f64 v[38:39], v[56:57], v[40:41]
	;; [unrolled: 6-line block ×3, first 2 shown]
	v_mul_f64 v[10:11], v[112:113], v[14:15]
	v_mul_f64 v[14:15], v[74:75], v[38:39]
	v_fmac_f64_e32 v[10:11], v[26:27], v[14:15]
	scratch_store_dwordx2 off, v[10:11], off offset:576 ; 8-byte Folded Spill
	scratch_load_dwordx2 v[10:11], off, off offset:600 ; 8-byte Folded Reload
	s_nop 0
	scratch_load_dwordx4 v[34:37], off, off offset:800 ; 16-byte Folded Reload
	v_mul_f64 v[14:15], v[58:59], v[42:43]
	v_mul_f64 v[42:43], v[58:59], v[46:47]
	;; [unrolled: 1-line block ×5, first 2 shown]
	v_fmac_f64_e32 v[42:43], v[28:29], v[14:15]
	v_mul_f64 v[14:15], v[28:29], v[38:39]
	v_mul_f64 v[38:39], v[58:59], v[44:45]
	;; [unrolled: 1-line block ×3, first 2 shown]
	scratch_load_dwordx2 v[90:91], off, off offset:496 ; 8-byte Folded Reload
	v_mov_b64_e32 v[30:31], v[106:107]
	v_fmac_f64_e32 v[44:45], v[124:125], v[38:39]
	s_waitcnt vmcnt(1)
	v_mul_f64 v[14:15], v[10:11], v[36:37]
	scratch_load_dwordx2 v[10:11], off, off offset:560 ; 8-byte Folded Reload
	scratch_load_dwordx2 v[110:111], off, off offset:504 ; 8-byte Folded Reload
	scratch_load_dwordx4 v[20:23], off, off offset:832 ; 16-byte Folded Reload
	scratch_load_dwordx4 v[104:107], off, off offset:816 ; 16-byte Folded Reload
	scratch_load_dwordx2 v[28:29], off, off offset:568 ; 8-byte Folded Reload
	s_waitcnt vmcnt(5)
	v_mul_f64 v[14:15], v[90:91], v[14:15]
	s_waitcnt vmcnt(4)
	v_mul_f64 v[14:15], v[10:11], v[14:15]
	;; [unrolled: 2-line block ×3, first 2 shown]
	v_mul_f64 v[38:39], v[90:91], v[38:39]
	v_mul_f64 v[38:39], v[114:115], v[38:39]
	;; [unrolled: 1-line block ×3, first 2 shown]
	s_waitcnt vmcnt(0)
	v_mul_f64 v[26:27], v[28:29], v[36:37]
	v_fmac_f64_e32 v[64:65], v[88:89], v[14:15]
	v_mul_f64 v[14:15], v[110:111], v[106:107]
	v_mul_f64 v[38:39], v[90:91], v[26:27]
	v_mul_f64 v[14:15], v[90:91], v[14:15]
	v_mul_f64 v[26:27], v[114:115], v[38:39]
	v_fmac_f64_e32 v[64:65], v[84:85], v[14:15]
	v_mul_f64 v[14:15], v[28:29], v[22:23]
	v_mul_f64 v[26:27], v[10:11], v[26:27]
	v_mul_f64 v[14:15], v[90:91], v[14:15]
	;; [unrolled: 5-line block ×3, first 2 shown]
	v_mul_f64 v[14:15], v[84:85], v[38:39]
	v_fmac_f64_e32 v[26:27], v[10:11], v[14:15]
	scratch_load_dwordx2 v[10:11], off, off offset:704 ; 8-byte Folded Reload
	scratch_load_dwordx2 v[28:29], off, off offset:712 ; 8-byte Folded Reload
	;; [unrolled: 1-line block ×4, first 2 shown]
	v_mul_f64 v[38:39], v[4:5], v[18:19]
	v_mul_f64 v[38:39], v[18:19], v[38:39]
	v_mov_b64_e32 v[106:107], v[30:31]
	v_mul_f64 v[38:39], v[4:5], v[38:39]
	s_waitcnt vmcnt(2)
	v_fma_f64 v[14:15], 2.0, v[10:11], v[28:29]
	s_waitcnt vmcnt(1)
	v_mul_f64 v[30:31], v[14:15], v[112:113]
	v_mul_f64 v[30:31], v[0:1], v[30:31]
	s_waitcnt vmcnt(0)
	v_fma_f64 v[46:47], v[88:89], v[88:89], v[38:39]
	v_mul_f64 v[30:31], v[112:113], v[30:31]
	v_mul_f64 v[46:47], v[10:11], v[46:47]
	;; [unrolled: 1-line block ×3, first 2 shown]
	v_fmac_f64_e32 v[46:47], v[0:1], v[30:31]
	v_mul_f64 v[30:31], v[14:15], v[18:19]
	v_mul_f64 v[74:75], v[112:113], v[74:75]
	;; [unrolled: 1-line block ×4, first 2 shown]
	v_fmac_f64_e32 v[84:85], v[0:1], v[74:75]
	v_mul_f64 v[30:31], v[18:19], v[30:31]
	v_mul_f64 v[84:85], v[10:11], v[84:85]
	v_fmac_f64_e32 v[84:85], v[4:5], v[30:31]
	v_add_f64 v[30:31], v[10:11], v[28:29]
	scratch_load_dwordx2 v[28:29], off, off offset:696 ; 8-byte Folded Reload
	v_fmac_f64_e32 v[38:39], v[0:1], v[74:75]
	v_mul_f64 v[38:39], v[10:11], v[38:39]
	v_mul_f64 v[14:15], v[14:15], v[88:89]
	v_fmac_f64_e32 v[38:39], v[88:89], v[14:15]
	s_waitcnt vmcnt(0)
	v_mul_f64 v[14:15], v[28:29], v[30:31]
	v_mul_f64 v[30:31], v[112:113], v[14:15]
	;; [unrolled: 1-line block ×8, first 2 shown]
	scratch_load_dwordx2 v[84:85], off, off offset:760 ; 8-byte Folded Reload
	scratch_load_dwordx2 v[88:89], off, off offset:768 ; 8-byte Folded Reload
	;; [unrolled: 1-line block ×3, first 2 shown]
	v_mul_f64 v[46:47], v[98:99], v[46:47]
	v_mul_f64 v[14:15], v[98:99], v[14:15]
	s_waitcnt vmcnt(1)
	v_mul_f64 v[74:75], v[88:89], v[46:47]
	scratch_load_dwordx2 v[46:47], off, off offset:752 ; 8-byte Folded Reload
	v_mul_f64 v[14:15], v[84:85], v[14:15]
	v_fmac_f64_e32 v[14:15], v[18:19], v[88:89]
	v_fmac_f64_e32 v[74:75], v[18:19], v[84:85]
	v_mul_f64 v[18:19], v[106:107], v[30:31]
	s_waitcnt vmcnt(1)
	v_mul_f64 v[30:31], v[112:113], v[10:11]
	v_mul_f64 v[10:11], v[30:31], v[88:89]
	v_fmac_f64_e32 v[10:11], v[84:85], v[18:19]
	s_waitcnt vmcnt(0)
	v_fmac_f64_e32 v[14:15], v[18:19], v[46:47]
	v_fmac_f64_e32 v[74:75], v[30:31], v[46:47]
	v_mul_f64 v[18:19], v[28:29], v[38:39]
	scratch_load_dwordx2 v[28:29], off, off offset:64 ; 8-byte Folded Reload
	scratch_load_dwordx2 v[30:31], off, off offset:96 ; 8-byte Folded Reload
	v_add_f64 v[38:39], v[32:33], -v[16:17]
	v_mul_f64 v[18:19], v[98:99], v[18:19]
	v_fmac_f64_e32 v[10:11], v[46:47], v[18:19]
	v_mul_f64 v[18:19], v[110:111], v[90:91]
	v_mul_f64 v[18:19], v[90:91], v[18:19]
	v_add_f64 v[14:15], v[116:117], v[14:15]
	s_waitcnt vmcnt(0)
	v_add_f64 v[30:31], v[28:29], -v[30:31]
	scratch_load_dwordx2 v[16:17], off, off offset:80 ; 8-byte Folded Reload
	scratch_load_dwordx2 v[28:29], off, off offset:128 ; 8-byte Folded Reload
	v_mul_f64 v[30:31], v[30:31], s[2:3]
	v_fma_f64 v[30:31], v[38:39], s[12:13], -v[30:31]
	s_waitcnt vmcnt(0)
	v_add_f64 v[38:39], v[16:17], -v[28:29]
	scratch_load_dwordx2 v[16:17], off, off offset:176 ; 8-byte Folded Reload
	scratch_load_dwordx2 v[28:29], off, off offset:224 ; 8-byte Folded Reload
	v_mul_f64 v[38:39], v[38:39], s[2:3]
	scratch_load_dwordx2 v[98:99], off, off offset:464 ; 8-byte Folded Reload
	scratch_load_dwordx4 v[88:91], off, off offset:448 ; 16-byte Folded Reload
	s_waitcnt vmcnt(2)
	v_add_f64 v[46:47], v[16:17], -v[28:29]
	v_fma_f64 v[38:39], v[46:47], s[12:13], -v[38:39]
	v_mul_f64 v[46:47], v[24:25], v[56:57]
	v_mul_f64 v[46:47], v[56:57], v[46:47]
	;; [unrolled: 1-line block ×3, first 2 shown]
	scratch_load_dwordx2 v[46:47], off, off offset:472 ; 8-byte Folded Reload
	scratch_load_dwordx2 v[24:25], off, off offset:536 ; 8-byte Folded Reload
	v_fma_f64 v[18:19], v[18:19], v[30:31], -v[38:39]
	s_waitcnt vmcnt(2)
	v_mov_b64_e32 v[56:57], v[90:91]
	v_mul_f64 v[30:31], v[98:99], v[20:21]
	v_mul_f64 v[28:29], v[98:99], v[104:105]
	;; [unrolled: 1-line block ×4, first 2 shown]
	s_waitcnt vmcnt(1)
	v_mul_f64 v[32:33], v[46:47], v[20:21]
	s_waitcnt vmcnt(0)
	v_mul_f64 v[38:39], v[24:25], v[34:35]
	v_mul_f64 v[24:25], v[46:47], v[34:35]
	;; [unrolled: 1-line block ×5, first 2 shown]
	scratch_load_dwordx2 v[8:9], off, off offset:72 ; 8-byte Folded Reload
	scratch_load_dwordx2 v[16:17], off, off offset:88 ; 8-byte Folded Reload
	v_mul_f64 v[84:85], v[56:57], v[38:39]
	v_mul_f64 v[38:39], v[98:99], v[56:57]
	;; [unrolled: 1-line block ×6, first 2 shown]
	s_waitcnt vmcnt(0)
	v_add_f64 v[90:91], v[8:9], -v[16:17]
	scratch_load_dwordx2 v[8:9], off, off offset:136 ; 8-byte Folded Reload
	scratch_load_dwordx2 v[16:17], off, off offset:184 ; 8-byte Folded Reload
	v_mul_f64 v[90:91], v[90:91], s[2:3]
	s_waitcnt vmcnt(0)
	v_add_f64 v[98:99], v[8:9], -v[16:17]
	scratch_load_dwordx2 v[8:9], off, off offset:104 ; 8-byte Folded Reload
	scratch_load_dwordx2 v[16:17], off, off offset:872 ; 8-byte Folded Reload
	v_fma_f64 v[90:91], v[98:99], s[12:13], -v[90:91]
	s_waitcnt vmcnt(0)
	v_add_f64 v[98:99], v[16:17], -v[8:9]
	scratch_load_dwordx2 v[8:9], off, off offset:120 ; 8-byte Folded Reload
	scratch_load_dwordx2 v[16:17], off, off offset:168 ; 8-byte Folded Reload
	v_mul_f64 v[98:99], v[98:99], s[2:3]
	s_waitcnt vmcnt(0)
	v_add_f64 v[110:111], v[8:9], -v[16:17]
	scratch_load_dwordx2 v[8:9], off, off offset:160 ; 8-byte Folded Reload
	scratch_load_dwordx2 v[16:17], off, off offset:216 ; 8-byte Folded Reload
	v_fma_f64 v[98:99], v[110:111], s[12:13], -v[98:99]
	v_mul_f64 v[46:47], v[46:47], v[98:99]
	v_fma_f64 v[90:91], v[38:39], v[90:91], -v[46:47]
	s_waitcnt vmcnt(0)
	v_add_f64 v[38:39], v[8:9], -v[16:17]
	scratch_load_dwordx2 v[8:9], off, off offset:240 ; 8-byte Folded Reload
	v_mul_f64 v[38:39], v[38:39], s[2:3]
	s_waitcnt vmcnt(0)
	v_add_f64 v[46:47], v[8:9], -v[12:13]
	scratch_load_dwordx2 v[8:9], off, off offset:208 ; 8-byte Folded Reload
	scratch_load_dwordx2 v[12:13], off, off offset:232 ; 8-byte Folded Reload
	v_fma_f64 v[38:39], v[46:47], s[12:13], -v[38:39]
	s_waitcnt vmcnt(0)
	v_add_f64 v[46:47], v[8:9], -v[12:13]
	scratch_load_dwordx2 v[8:9], off, off offset:248 ; 8-byte Folded Reload
	scratch_load_dwordx2 v[12:13], off, off offset:864 ; 8-byte Folded Reload
	v_mul_f64 v[46:47], v[46:47], s[2:3]
	s_waitcnt vmcnt(0)
	v_add_f64 v[98:99], v[8:9], -v[12:13]
	scratch_load_dwordx2 v[8:9], off, off offset:624 ; 8-byte Folded Reload
	v_fma_f64 v[46:47], v[98:99], s[12:13], -v[46:47]
	s_waitcnt vmcnt(0)
	v_mul_f64 v[46:47], v[8:9], v[46:47]
	scratch_load_dwordx2 v[8:9], off, off offset:640 ; 8-byte Folded Reload
	s_waitcnt vmcnt(0)
	v_fma_f64 v[46:47], v[8:9], v[38:39], -v[46:47]
	scratch_load_dwordx2 v[8:9], off, off offset:672 ; 8-byte Folded Reload
	s_waitcnt vmcnt(0)
	v_mul_f64 v[16:17], v[8:9], s[2:3]
	scratch_load_dwordx2 v[8:9], off, off offset:664 ; 8-byte Folded Reload
	s_waitcnt vmcnt(0)
	v_fma_f64 v[12:13], v[8:9], s[12:13], -v[16:17]
	scratch_load_dwordx2 v[8:9], off, off offset:720 ; 8-byte Folded Reload
	scratch_load_dwordx2 v[16:17], off, off offset:744 ; 8-byte Folded Reload
	v_add_f64 v[38:39], v[14:15], v[12:13]
	v_mul_f64 v[14:15], v[2:3], v[84:85]
	s_waitcnt vmcnt(1)
	v_mul_f64 v[8:9], v[8:9], s[2:3]
	s_waitcnt vmcnt(0)
	v_fma_f64 v[8:9], v[16:17], s[12:13], -v[8:9]
	v_add_f64 v[16:17], v[82:83], v[74:75]
	v_add_f64 v[12:13], v[16:17], v[8:9]
	scratch_load_dwordx2 v[8:9], off, off offset:656 ; 8-byte Folded Reload
	v_mul_f64 v[16:17], v[60:61], v[30:31]
	v_mul_f64 v[16:17], v[4:5], v[16:17]
	v_fmac_f64_e32 v[16:17], v[70:71], v[14:15]
	v_fmac_f64_e32 v[16:17], v[66:67], v[28:29]
	v_add_f64 v[14:15], v[16:17], -v[78:79]
	v_mul_f64 v[16:17], v[66:67], v[24:25]
	s_waitcnt vmcnt(0)
	v_add_f64 v[8:9], v[64:65], -v[8:9]
	v_mul_f64 v[8:9], v[8:9], s[2:3]
	v_fma_f64 v[28:29], v[14:15], s[12:13], -v[8:9]
	v_mul_f64 v[14:15], v[60:61], v[24:25]
	v_mul_f64 v[14:15], v[2:3], v[14:15]
	;; [unrolled: 1-line block ×3, first 2 shown]
	v_add_f64 v[8:9], v[22:23], -v[40:41]
	v_fmac_f64_e32 v[14:15], v[70:71], v[32:33]
	v_add_f64 v[14:15], v[14:15], -v[44:45]
	v_mul_f64 v[8:9], v[8:9], s[2:3]
	v_fma_f64 v[32:33], v[14:15], s[12:13], -v[8:9]
	scratch_load_dwordx2 v[8:9], off, off offset:576 ; 8-byte Folded Reload
	v_mul_f64 v[14:15], v[70:71], v[88:89]
	v_fmac_f64_e32 v[14:15], v[2:3], v[16:17]
	v_add_f64 v[2:3], v[14:15], -v[42:43]
	v_mul_f64 v[44:45], v[46:47], s[2:3]
	s_waitcnt vmcnt(0)
	v_add_f64 v[8:9], v[26:27], -v[8:9]
	v_mul_f64 v[8:9], v[8:9], s[2:3]
	v_fma_f64 v[36:37], v[2:3], s[12:13], -v[8:9]
	v_mul_f64 v[2:3], v[18:19], s[2:3]
	v_fma_f64 v[40:41], v[90:91], s[12:13], -v[2:3]
	scratch_load_dwordx2 v[2:3], off, off offset:112 ; 8-byte Folded Reload
	scratch_load_dwordx2 v[8:9], off, off offset:152 ; 8-byte Folded Reload
	v_add_f64 v[38:39], v[40:41], v[38:39]
	v_fmac_f64_e32 v[38:39], v[106:107], v[28:29]
	s_waitcnt vmcnt(0)
	v_add_f64 v[2:3], v[2:3], -v[8:9]
	scratch_load_dwordx2 v[8:9], off, off offset:200 ; 8-byte Folded Reload
	scratch_load_dwordx2 v[14:15], off, off offset:856 ; 8-byte Folded Reload
	v_mul_f64 v[2:3], v[2:3], s[2:3]
	s_waitcnt vmcnt(0)
	v_add_f64 v[8:9], v[8:9], -v[14:15]
	v_fma_f64 v[2:3], v[8:9], s[12:13], -v[2:3]
	scratch_load_dwordx2 v[8:9], off, off offset:144 ; 8-byte Folded Reload
	scratch_load_dwordx2 v[14:15], off, off offset:192 ; 8-byte Folded Reload
	s_waitcnt vmcnt(0)
	v_add_f64 v[8:9], v[8:9], -v[14:15]
	scratch_load_dwordx2 v[14:15], off, off offset:256 ; 8-byte Folded Reload
	scratch_load_dwordx2 v[16:17], off, off offset:848 ; 8-byte Folded Reload
	v_mul_f64 v[8:9], v[8:9], s[2:3]
	s_waitcnt vmcnt(0)
	v_add_f64 v[14:15], v[14:15], -v[16:17]
	v_fma_f64 v[30:31], v[14:15], s[12:13], -v[8:9]
	scratch_load_dwordx2 v[8:9], off, off offset:632 ; 8-byte Folded Reload
	s_waitcnt vmcnt(0)
	v_lshl_add_u64 v[8:9], v[8:9], 3, s[10:11]
	global_load_dwordx2 v[24:25], v[8:9], off
	s_nop 0
	scratch_load_dwordx2 v[8:9], off, off offset:552 ; 8-byte Folded Reload
	s_waitcnt vmcnt(0)
	v_lshl_add_u64 v[8:9], v[8:9], 3, s[10:11]
	global_load_dwordx2 v[26:27], v[8:9], off
	s_nop 0
	;; [unrolled: 5-line block ×8, first 2 shown]
	scratch_load_dwordx2 v[34:35], off, off offset:480 ; 8-byte Folded Reload
	s_waitcnt vmcnt(0)
	v_mul_f64 v[42:43], v[34:35], v[30:31]
	scratch_load_dword v30, off, off offset:396 ; 4-byte Folded Reload
	s_waitcnt vmcnt(0)
	v_add_u32_e32 v30, s16, v30
	v_ashrrev_i32_e32 v31, 31, v30
	v_lshl_add_u64 v[30:31], v[30:31], 3, s[10:11]
	global_load_dwordx2 v[34:35], v[30:31], off
	s_nop 0
	scratch_load_dword v30, off, off offset:392 ; 4-byte Folded Reload
	scratch_load_dwordx2 v[46:47], off, off offset:440 ; 8-byte Folded Reload
	scratch_load_dwordx2 v[78:79], off, off offset:360 ; 8-byte Folded Reload
	scratch_load_dwordx2 v[88:89], off, off offset:368 ; 8-byte Folded Reload
	scratch_load_dwordx2 v[98:99], off, off offset:56 ; 8-byte Folded Reload
	scratch_load_dwordx2 v[70:71], off, off offset:304 ; 8-byte Folded Reload
	scratch_load_dwordx2 v[66:67], off, off offset:296 ; 8-byte Folded Reload
	scratch_load_dwordx2 v[90:91], off, off offset:48 ; 8-byte Folded Reload
	scratch_load_dwordx2 v[58:59], off, off offset:32 ; 8-byte Folded Reload
	scratch_load_dwordx2 v[56:57], off, off offset:40 ; 8-byte Folded Reload
	scratch_load_dwordx4 v[82:85], off, off offset:312 ; 16-byte Folded Reload
	scratch_load_dwordx2 v[74:75], off, off offset:328 ; 8-byte Folded Reload
	scratch_load_dword v28, off, off offset:376 ; 4-byte Folded Reload
	s_waitcnt vmcnt(12)
	v_add_u32_e32 v30, s16, v30
	s_waitcnt vmcnt(11)
	v_fma_f64 v[2:3], v[46:47], v[2:3], -v[42:43]
	v_fma_f64 v[42:43], v[2:3], s[12:13], -v[44:45]
	v_add_f64 v[2:3], v[92:93], v[10:11]
	scratch_load_dwordx2 v[92:93], off, off ; 8-byte Folded Reload
	v_add_f64 v[12:13], v[42:43], v[12:13]
	v_add_f64 v[32:33], v[12:13], v[32:33]
	s_waitcnt vmcnt(11)
	v_mul_f64 v[12:13], v[78:79], v[24:25]
	v_fmac_f64_e32 v[2:3], v[106:107], v[36:37]
	s_waitcnt vmcnt(9)
	v_mul_f64 v[36:37], v[98:99], v[12:13]
	v_mul_f64 v[12:13], v[86:87], v[36:37]
	;; [unrolled: 1-line block ×6, first 2 shown]
	v_fmac_f64_e32 v[12:13], v[80:81], v[40:41]
	s_waitcnt vmcnt(8)
	v_mul_f64 v[40:41], v[70:71], v[20:21]
	s_waitcnt vmcnt(6)
	v_mul_f64 v[40:41], v[90:91], v[40:41]
	v_mul_f64 v[42:43], v[52:53], v[40:41]
	s_waitcnt vmcnt(3)
	v_mul_f64 v[42:43], v[82:83], v[42:43]
	v_mul_f64 v[44:45], v[70:71], v[22:23]
	;; [unrolled: 1-line block ×4, first 2 shown]
	v_fmac_f64_e32 v[42:43], v[76:77], v[44:45]
	v_add_f64 v[12:13], v[12:13], -v[42:43]
	s_waitcnt vmcnt(2)
	v_mul_f64 v[42:43], v[74:75], v[16:17]
	v_mul_f64 v[46:47], v[74:75], v[18:19]
	;; [unrolled: 1-line block ×6, first 2 shown]
	scratch_load_dword v10, off, off offset:388 ; 4-byte Folded Reload
	v_ashrrev_i32_e32 v31, 31, v30
	v_lshl_add_u64 v[30:31], v[30:31], 3, s[10:11]
	global_load_dwordx2 v[30:31], v[30:31], off
	s_waitcnt vmcnt(2)
	v_mul_f64 v[42:43], v[92:93], v[42:43]
	v_mul_f64 v[44:45], v[68:69], v[42:43]
	v_mul_f64 v[44:45], v[6:7], v[44:45]
	v_mul_f64 v[44:45], v[112:113], v[44:45]
	v_mul_f64 v[46:47], v[92:93], v[46:47]
	v_fmac_f64_e32 v[44:45], v[126:127], v[46:47]
	v_mul_f64 v[46:47], v[66:67], v[8:9]
	v_mul_f64 v[46:47], v[58:59], v[46:47]
	;; [unrolled: 1-line block ×5, first 2 shown]
	v_fmac_f64_e32 v[60:61], v[108:109], v[64:65]
	v_add_f64 v[44:45], v[44:45], -v[60:61]
	v_fma_f64 v[12:13], v[44:45], s[12:13], -v[12:13]
	v_add_f64 v[12:13], v[38:39], v[12:13]
	scratch_load_dwordx2 v[38:39], off, off offset:380 ; 8-byte Folded Reload
	v_mov_b64_e32 v[44:45], v[98:99]
	v_mul_f64 v[26:27], v[44:45], v[26:27]
	s_waitcnt vmcnt(0)
	v_mul_f64 v[24:25], v[38:39], v[24:25]
	v_mul_f64 v[24:25], v[44:45], v[24:25]
	;; [unrolled: 1-line block ×5, first 2 shown]
	v_fmac_f64_e32 v[24:25], v[86:87], v[26:27]
	v_mul_f64 v[26:27], v[56:57], v[34:35]
	v_mul_f64 v[26:27], v[44:45], v[26:27]
	;; [unrolled: 1-line block ×3, first 2 shown]
	v_fmac_f64_e32 v[24:25], v[112:113], v[26:27]
	scratch_load_dwordx2 v[26:27], off, off offset:344 ; 8-byte Folded Reload
	scratch_load_dwordx2 v[56:57], off, off offset:16 ; 8-byte Folded Reload
	v_mov_b64_e32 v[38:39], v[90:91]
	v_add_u32_e32 v10, s16, v10
	v_ashrrev_i32_e32 v11, 31, v10
	v_lshl_add_u64 v[10:11], v[10:11], 3, s[10:11]
	global_load_dwordx2 v[10:11], v[10:11], off
	s_waitcnt vmcnt(2)
	v_mul_f64 v[20:21], v[26:27], v[20:21]
	v_mul_f64 v[20:21], v[38:39], v[20:21]
	;; [unrolled: 1-line block ×3, first 2 shown]
	scratch_load_dwordx2 v[26:27], off, off offset:24 ; 8-byte Folded Reload
	v_add_u32_e32 v28, s16, v28
	v_ashrrev_i32_e32 v29, 31, v28
	s_waitcnt vmcnt(2)
	v_mul_f64 v[22:23], v[56:57], v[22:23]
	v_mul_f64 v[20:21], v[82:83], v[20:21]
	v_lshl_add_u64 v[28:29], v[28:29], 3, s[10:11]
	v_mul_f64 v[22:23], v[38:39], v[22:23]
	v_mul_f64 v[20:21], v[112:113], v[20:21]
	global_load_dwordx2 v[28:29], v[28:29], off
	v_fmac_f64_e32 v[20:21], v[52:53], v[22:23]
	v_mul_f64 v[22:23], v[56:57], v[30:31]
	v_mul_f64 v[22:23], v[38:39], v[22:23]
	;; [unrolled: 1-line block ×3, first 2 shown]
	v_fmac_f64_e32 v[20:21], v[112:113], v[22:23]
	scratch_load_dwordx2 v[22:23], off, off offset:352 ; 8-byte Folded Reload
	v_add_f64 v[20:21], v[24:25], -v[20:21]
	v_mov_b64_e32 v[24:25], v[92:93]
	v_mul_f64 v[20:21], v[20:21], s[2:3]
	s_mov_b32 s16, -1
	s_waitcnt vmcnt(2)
	v_mul_f64 v[18:19], v[26:27], v[18:19]
	v_mul_f64 v[18:19], v[24:25], v[18:19]
	s_waitcnt vmcnt(0)
	v_mul_f64 v[16:17], v[22:23], v[16:17]
	v_mul_f64 v[16:17], v[24:25], v[16:17]
	;; [unrolled: 1-line block ×5, first 2 shown]
	v_fmac_f64_e32 v[16:17], v[68:69], v[18:19]
	v_mul_f64 v[18:19], v[26:27], v[10:11]
	v_mul_f64 v[18:19], v[24:25], v[18:19]
	v_mul_f64 v[18:19], v[120:121], v[18:19]
	v_fmac_f64_e32 v[16:17], v[112:113], v[18:19]
	scratch_load_dwordx2 v[26:27], off, off offset:8 ; 8-byte Folded Reload
	scratch_load_dwordx2 v[18:19], off, off offset:336 ; 8-byte Folded Reload
	v_mov_b64_e32 v[22:23], v[58:59]
	v_mul_f64 v[10:11], v[74:75], v[10:11]
	v_mul_f64 v[10:11], v[24:25], v[10:11]
	;; [unrolled: 1-line block ×3, first 2 shown]
	s_waitcnt vmcnt(1)
	v_mul_f64 v[14:15], v[26:27], v[14:15]
	s_waitcnt vmcnt(0)
	v_mul_f64 v[8:9], v[18:19], v[8:9]
	v_mul_f64 v[8:9], v[22:23], v[8:9]
	;; [unrolled: 1-line block ×6, first 2 shown]
	v_fmac_f64_e32 v[8:9], v[54:55], v[14:15]
	v_mul_f64 v[14:15], v[26:27], v[28:29]
	v_mul_f64 v[14:15], v[22:23], v[14:15]
	v_mul_f64 v[14:15], v[102:103], v[14:15]
	v_fmac_f64_e32 v[8:9], v[112:113], v[14:15]
	v_add_f64 v[8:9], v[16:17], -v[8:9]
	v_mul_f64 v[16:17], v[78:79], v[34:35]
	v_fma_f64 v[8:9], v[8:9], s[12:13], -v[20:21]
	v_mul_f64 v[16:17], v[44:45], v[16:17]
	v_mul_f64 v[18:19], v[70:71], v[30:31]
	v_add_f64 v[14:15], v[32:33], v[8:9]
	v_mul_f64 v[8:9], v[118:119], v[36:37]
	v_mul_f64 v[16:17], v[80:81], v[16:17]
	;; [unrolled: 1-line block ×3, first 2 shown]
	v_fmac_f64_e32 v[16:17], v[88:89], v[8:9]
	v_mul_f64 v[8:9], v[122:123], v[40:41]
	v_mul_f64 v[18:19], v[76:77], v[18:19]
	v_fmac_f64_e32 v[18:19], v[82:83], v[8:9]
	v_add_f64 v[8:9], v[16:17], -v[18:19]
	v_mul_f64 v[16:17], v[120:121], v[42:43]
	v_fmac_f64_e32 v[10:11], v[6:7], v[16:17]
	v_mul_f64 v[16:17], v[66:67], v[28:29]
	v_mul_f64 v[16:17], v[22:23], v[16:17]
	;; [unrolled: 1-line block ×4, first 2 shown]
	v_fmac_f64_e32 v[16:17], v[84:85], v[6:7]
	v_mul_f64 v[8:9], v[8:9], s[2:3]
	v_add_f64 v[6:7], v[10:11], -v[16:17]
	v_fma_f64 v[6:7], v[6:7], s[12:13], -v[8:9]
	v_fmac_f64_e32 v[2:3], v[112:113], v[6:7]
	scratch_load_dword v6, off, off offset:684 ; 4-byte Folded Reload
	s_waitcnt vmcnt(0)
	v_subrev_u32_e32 v32, s26, v6
	scratch_load_dword v6, off, off offset:688 ; 4-byte Folded Reload
	s_waitcnt vmcnt(0)
	v_subrev_u32_e32 v33, s26, v6
	;; [unrolled: 3-line block ×4, first 2 shown]
.LBB0_10:                               ; =>This Inner Loop Header: Depth=1
	v_add_u32_e32 v8, s33, v34
	v_add_u32_e32 v10, s33, v35
	;; [unrolled: 1-line block ×16, first 2 shown]
	v_ashrrev_i32_e32 v9, 31, v8
	v_ashrrev_i32_e32 v11, 31, v10
	;; [unrolled: 1-line block ×16, first 2 shown]
	v_lshlrev_b64 v[8:9], 3, v[8:9]
	v_lshlrev_b64 v[10:11], 3, v[10:11]
	;; [unrolled: 1-line block ×3, first 2 shown]
	v_lshl_add_u64 v[52:53], v[18:19], 3, s[10:11]
	v_lshl_add_u64 v[18:19], v[20:21], 3, s[4:5]
	;; [unrolled: 1-line block ×21, first 2 shown]
	global_load_dwordx2 v[76:77], v[18:19], off
	global_load_dwordx2 v[78:79], v[20:21], off
	;; [unrolled: 1-line block ×9, first 2 shown]
	s_nop 0
	global_load_dwordx2 v[40:41], v[40:41], off
	s_nop 0
	global_load_dwordx2 v[42:43], v[42:43], off
	s_nop 0
	global_load_dwordx2 v[44:45], v[44:45], off
	s_nop 0
	global_load_dwordx2 v[46:47], v[46:47], off
	s_nop 0
	global_load_dwordx2 v[54:55], v[54:55], off
	s_nop 0
	global_load_dwordx2 v[60:61], v[60:61], off
	s_nop 0
	global_load_dwordx2 v[64:65], v[64:65], off
	s_nop 0
	global_load_dwordx4 v[8:11], v[66:67], off offset:8
	global_load_dwordx4 v[16:19], v[66:67], off offset:-16
	s_nop 0
	global_load_dwordx2 v[66:67], v[68:69], off
	global_load_dwordx4 v[20:23], v[70:71], off offset:8
	global_load_dwordx4 v[24:27], v[70:71], off offset:-16
	global_load_dwordx4 v[28:31], v[74:75], off offset:8
	global_load_dwordx4 v[36:39], v[74:75], off offset:-16
	s_nop 0
	global_load_dwordx2 v[52:53], v[52:53], off
	v_add_u32_e32 v6, s16, v48
	v_ashrrev_i32_e32 v7, 31, v6
	v_lshl_add_u64 v[6:7], v[6:7], 3, s[18:19]
	global_load_dwordx2 v[6:7], v[6:7], off
	s_add_i32 s16, s16, 6
	v_add_u32_e32 v101, s21, v101
	v_add_u32_e32 v94, s21, v94
	;; [unrolled: 1-line block ×16, first 2 shown]
	s_cmp_eq_u32 s16, 47
	s_waitcnt vmcnt(23)
	v_add_f64 v[68:69], v[76:77], -v[78:79]
	s_waitcnt vmcnt(21)
	v_add_f64 v[70:71], v[80:81], -v[82:83]
	;; [unrolled: 2-line block ×5, first 2 shown]
	v_mul_f64 v[40:41], v[40:41], s[2:3]
	s_waitcnt vmcnt(13)
	v_add_f64 v[42:43], v[42:43], -v[44:45]
	v_fma_f64 v[40:41], v[42:43], s[12:13], -v[40:41]
	s_waitcnt vmcnt(11)
	v_fma_f64 v[44:45], 2.0, v[46:47], v[54:55]
	s_waitcnt vmcnt(7)
	v_add_f64 v[10:11], v[10:11], -v[16:17]
	v_add_f64 v[8:9], v[8:9], -v[18:19]
	s_waitcnt vmcnt(6)
	v_mul_f64 v[16:17], v[46:47], v[66:67]
	s_waitcnt vmcnt(4)
	v_add_f64 v[18:19], v[22:23], -v[24:25]
	v_add_f64 v[20:21], v[20:21], -v[26:27]
	s_waitcnt vmcnt(2)
	v_add_f64 v[24:25], v[30:31], -v[36:37]
	s_waitcnt vmcnt(1)
	v_mul_f64 v[22:23], v[46:47], v[52:53]
	v_add_f64 v[26:27], v[28:29], -v[38:39]
	v_mul_f64 v[28:29], v[68:69], s[2:3]
	v_mul_f64 v[46:47], v[46:47], v[60:61]
	;; [unrolled: 1-line block ×11, first 2 shown]
	v_fma_f64 v[28:29], v[70:71], s[12:13], -v[28:29]
	v_mul_f64 v[46:47], v[46:47], v[64:65]
	v_fma_f64 v[8:9], v[8:9], s[12:13], -v[10:11]
	v_fma_f64 v[10:11], v[20:21], s[12:13], -v[18:19]
	v_mul_f64 v[42:43], v[64:65], v[52:53]
	v_mul_f64 v[52:53], v[54:55], v[64:65]
	v_fma_f64 v[18:19], v[26:27], s[12:13], -v[24:25]
	v_mul_f64 v[20:21], v[16:17], v[28:29]
	v_mul_f64 v[26:27], v[22:23], v[40:41]
	;; [unrolled: 1-line block ×11, first 2 shown]
	v_fma_f64 v[36:37], v[76:77], s[12:13], -v[36:37]
	v_mul_f64 v[38:39], v[64:65], v[38:39]
	v_mul_f64 v[24:25], v[64:65], v[44:45]
	;; [unrolled: 1-line block ×8, first 2 shown]
	v_fmac_f64_e32 v[16:17], v[106:107], v[52:53]
	v_mul_f64 v[18:19], v[106:107], v[18:19]
	v_fmac_f64_e32 v[10:11], v[38:39], v[8:9]
	v_mul_f64 v[20:21], v[4:5], v[20:21]
	v_mul_f64 v[40:41], v[4:5], v[40:41]
	;; [unrolled: 1-line block ×3, first 2 shown]
	v_fmac_f64_e32 v[16:17], v[106:107], v[22:23]
	v_fmac_f64_e32 v[18:19], v[106:107], v[42:43]
	;; [unrolled: 1-line block ×3, first 2 shown]
	v_mul_f64 v[30:31], v[30:31], v[64:65]
	v_fmac_f64_e32 v[16:17], v[112:113], v[20:21]
	v_fmac_f64_e32 v[18:19], v[112:113], v[40:41]
	v_fmac_f64_e32 v[10:11], v[112:113], v[24:25]
	v_fmac_f64_e32 v[16:17], v[30:31], v[36:37]
	v_fmac_f64_e32 v[18:19], v[112:113], v[44:45]
	v_fmac_f64_e32 v[10:11], v[112:113], v[26:27]
	s_waitcnt vmcnt(0)
	v_fmac_f64_e32 v[12:13], v[6:7], v[16:17]
	v_fmac_f64_e32 v[2:3], v[6:7], v[18:19]
	;; [unrolled: 1-line block ×3, first 2 shown]
	s_cbranch_scc0 .LBB0_10
; %bb.11:
	scratch_load_dwordx2 v[6:7], off, off offset:264 ; 8-byte Folded Reload
	scratch_load_dwordx2 v[22:23], off, off offset:288 ; 8-byte Folded Reload
	v_mul_f64 v[0:1], v[0:1], v[4:5]
	scratch_load_dwordx2 v[4:5], off, off offset:272 ; 8-byte Folded Reload
	s_load_dwordx4 s[0:3], s[0:1], 0x30
	s_waitcnt lgkmcnt(0)
	v_mul_f64 v[12:13], s[2:3], v[12:13]
	v_mul_f64 v[2:3], s[2:3], v[2:3]
	s_waitcnt vmcnt(2)
	v_lshl_add_u64 v[6:7], v[6:7], 3, s[14:15]
	global_load_dwordx2 v[8:9], v[6:7], off
	s_waitcnt vmcnt(2)
	v_div_scale_f64 v[10:11], s[4:5], v[22:23], v[22:23], v[0:1]
	v_rcp_f64_e32 v[16:17], v[10:11]
	v_div_scale_f64 v[18:19], vcc, v[0:1], v[22:23], v[0:1]
	s_waitcnt vmcnt(1)
	v_lshl_add_u64 v[4:5], v[4:5], 3, s[14:15]
	v_fma_f64 v[20:21], -v[10:11], v[16:17], 1.0
	v_fmac_f64_e32 v[16:17], v[16:17], v[20:21]
	v_fma_f64 v[20:21], -v[10:11], v[16:17], 1.0
	v_fmac_f64_e32 v[16:17], v[16:17], v[20:21]
	v_mul_f64 v[20:21], v[18:19], v[16:17]
	v_fma_f64 v[10:11], -v[10:11], v[20:21], v[18:19]
	v_div_fmas_f64 v[10:11], v[10:11], v[16:17], v[20:21]
	v_div_fixup_f64 v[0:1], v[10:11], v[22:23], v[0:1]
	v_mul_f64 v[10:11], s[2:3], v[14:15]
	s_waitcnt vmcnt(0)
	v_mul_f64 v[8:9], s[0:1], v[8:9]
	v_fmac_f64_e32 v[8:9], v[0:1], v[12:13]
	global_store_dwordx2 v[6:7], v[8:9], off
	global_load_dwordx2 v[6:7], v[4:5], off
	s_nop 0
	scratch_load_dwordx2 v[8:9], off, off offset:280 ; 8-byte Folded Reload
	s_waitcnt vmcnt(1)
	v_mul_f64 v[6:7], s[0:1], v[6:7]
	v_fmac_f64_e32 v[6:7], v[0:1], v[10:11]
	s_waitcnt vmcnt(0)
	v_lshl_add_u64 v[8:9], v[8:9], 3, s[14:15]
	global_store_dwordx2 v[4:5], v[6:7], off
	global_load_dwordx2 v[4:5], v[8:9], off
	s_waitcnt vmcnt(0)
	v_mul_f64 v[4:5], s[0:1], v[4:5]
	v_fmac_f64_e32 v[4:5], v[0:1], v[2:3]
	global_store_dwordx2 v[8:9], v[4:5], off
.LBB0_12:
	s_endpgm
	.section	.rodata,"a",@progbits
	.p2align	6, 0x0
	.amdhsa_kernel _Z7kernel1iiiiiiiiiiiiddPKdS0_S0_S0_S0_PdS0_S0_S0_S0_S0_S0_S0_
		.amdhsa_group_segment_fixed_size 0
		.amdhsa_private_segment_fixed_size 884
		.amdhsa_kernarg_size 424
		.amdhsa_user_sgpr_count 2
		.amdhsa_user_sgpr_dispatch_ptr 0
		.amdhsa_user_sgpr_queue_ptr 0
		.amdhsa_user_sgpr_kernarg_segment_ptr 1
		.amdhsa_user_sgpr_dispatch_id 0
		.amdhsa_user_sgpr_kernarg_preload_length 0
		.amdhsa_user_sgpr_kernarg_preload_offset 0
		.amdhsa_user_sgpr_private_segment_size 0
		.amdhsa_uses_dynamic_stack 0
		.amdhsa_enable_private_segment 1
		.amdhsa_system_sgpr_workgroup_id_x 1
		.amdhsa_system_sgpr_workgroup_id_y 1
		.amdhsa_system_sgpr_workgroup_id_z 1
		.amdhsa_system_sgpr_workgroup_info 0
		.amdhsa_system_vgpr_workitem_id 2
		.amdhsa_next_free_vgpr 128
		.amdhsa_next_free_sgpr 45
		.amdhsa_accum_offset 128
		.amdhsa_reserve_vcc 1
		.amdhsa_float_round_mode_32 0
		.amdhsa_float_round_mode_16_64 0
		.amdhsa_float_denorm_mode_32 3
		.amdhsa_float_denorm_mode_16_64 3
		.amdhsa_dx10_clamp 1
		.amdhsa_ieee_mode 1
		.amdhsa_fp16_overflow 0
		.amdhsa_tg_split 0
		.amdhsa_exception_fp_ieee_invalid_op 0
		.amdhsa_exception_fp_denorm_src 0
		.amdhsa_exception_fp_ieee_div_zero 0
		.amdhsa_exception_fp_ieee_overflow 0
		.amdhsa_exception_fp_ieee_underflow 0
		.amdhsa_exception_fp_ieee_inexact 0
		.amdhsa_exception_int_div_zero 0
	.end_amdhsa_kernel
	.text
.Lfunc_end0:
	.size	_Z7kernel1iiiiiiiiiiiiddPKdS0_S0_S0_S0_PdS0_S0_S0_S0_S0_S0_S0_, .Lfunc_end0-_Z7kernel1iiiiiiiiiiiiddPKdS0_S0_S0_S0_PdS0_S0_S0_S0_S0_S0_S0_
                                        ; -- End function
	.set _Z7kernel1iiiiiiiiiiiiddPKdS0_S0_S0_S0_PdS0_S0_S0_S0_S0_S0_S0_.num_vgpr, 128
	.set _Z7kernel1iiiiiiiiiiiiddPKdS0_S0_S0_S0_PdS0_S0_S0_S0_S0_S0_S0_.num_agpr, 0
	.set _Z7kernel1iiiiiiiiiiiiddPKdS0_S0_S0_S0_PdS0_S0_S0_S0_S0_S0_S0_.numbered_sgpr, 45
	.set _Z7kernel1iiiiiiiiiiiiddPKdS0_S0_S0_S0_PdS0_S0_S0_S0_S0_S0_S0_.num_named_barrier, 0
	.set _Z7kernel1iiiiiiiiiiiiddPKdS0_S0_S0_S0_PdS0_S0_S0_S0_S0_S0_S0_.private_seg_size, 884
	.set _Z7kernel1iiiiiiiiiiiiddPKdS0_S0_S0_S0_PdS0_S0_S0_S0_S0_S0_S0_.uses_vcc, 1
	.set _Z7kernel1iiiiiiiiiiiiddPKdS0_S0_S0_S0_PdS0_S0_S0_S0_S0_S0_S0_.uses_flat_scratch, 0
	.set _Z7kernel1iiiiiiiiiiiiddPKdS0_S0_S0_S0_PdS0_S0_S0_S0_S0_S0_S0_.has_dyn_sized_stack, 0
	.set _Z7kernel1iiiiiiiiiiiiddPKdS0_S0_S0_S0_PdS0_S0_S0_S0_S0_S0_S0_.has_recursion, 0
	.set _Z7kernel1iiiiiiiiiiiiddPKdS0_S0_S0_S0_PdS0_S0_S0_S0_S0_S0_S0_.has_indirect_call, 0
	.section	.AMDGPU.csdata,"",@progbits
; Kernel info:
; codeLenInByte = 14088
; TotalNumSgprs: 51
; NumVgprs: 128
; NumAgprs: 0
; TotalNumVgprs: 128
; ScratchSize: 884
; MemoryBound: 0
; FloatMode: 240
; IeeeMode: 1
; LDSByteSize: 0 bytes/workgroup (compile time only)
; SGPRBlocks: 6
; VGPRBlocks: 15
; NumSGPRsForWavesPerEU: 51
; NumVGPRsForWavesPerEU: 128
; AccumOffset: 128
; Occupancy: 4
; WaveLimiterHint : 0
; COMPUTE_PGM_RSRC2:SCRATCH_EN: 1
; COMPUTE_PGM_RSRC2:USER_SGPR: 2
; COMPUTE_PGM_RSRC2:TRAP_HANDLER: 0
; COMPUTE_PGM_RSRC2:TGID_X_EN: 1
; COMPUTE_PGM_RSRC2:TGID_Y_EN: 1
; COMPUTE_PGM_RSRC2:TGID_Z_EN: 1
; COMPUTE_PGM_RSRC2:TIDIG_COMP_CNT: 2
; COMPUTE_PGM_RSRC3_GFX90A:ACCUM_OFFSET: 31
; COMPUTE_PGM_RSRC3_GFX90A:TG_SPLIT: 0
	.text
	.protected	_Z7kernel2iiiiiiiiiiiiddPKdS0_S0_S0_S0_PdS0_S0_S0_S0_S0_S0_S0_ ; -- Begin function _Z7kernel2iiiiiiiiiiiiddPKdS0_S0_S0_S0_PdS0_S0_S0_S0_S0_S0_S0_
	.globl	_Z7kernel2iiiiiiiiiiiiddPKdS0_S0_S0_S0_PdS0_S0_S0_S0_S0_S0_S0_
	.p2align	8
	.type	_Z7kernel2iiiiiiiiiiiiddPKdS0_S0_S0_S0_PdS0_S0_S0_S0_S0_S0_S0_,@function
_Z7kernel2iiiiiiiiiiiiddPKdS0_S0_S0_S0_PdS0_S0_S0_S0_S0_S0_S0_: ; @_Z7kernel2iiiiiiiiiiiiddPKdS0_S0_S0_S0_PdS0_S0_S0_S0_S0_S0_S0_
; %bb.0:
	s_load_dwordx2 s[6:7], s[0:1], 0xb4
	s_load_dwordx8 s[8:15], s[0:1], 0x0
	v_and_b32_e32 v1, 0x3ff, v0
	s_waitcnt lgkmcnt(0)
	s_and_b32 s5, s7, 0xffff
	s_lshr_b32 s7, s6, 16
	s_and_b32 s6, s6, 0xffff
	s_mul_i32 s2, s2, s6
	s_add_i32 s2, s2, s8
	v_add_u32_e32 v12, s2, v1
	s_mul_i32 s2, s3, s7
	s_add_i32 s2, s2, s10
	v_bfe_u32 v1, v0, 10, 10
	v_add_u32_e32 v2, s2, v1
	s_mul_i32 s2, s4, s5
	s_add_i32 s2, s2, s12
	v_bfe_u32 v0, v0, 20, 10
	v_add_u32_e32 v0, s2, v0
	v_cmp_gt_i32_e32 vcc, s9, v12
	v_cmp_gt_i32_e64 s[2:3], s11, v2
	s_and_b64 s[2:3], vcc, s[2:3]
	v_cmp_gt_i32_e32 vcc, s13, v0
	s_and_b64 s[2:3], s[2:3], vcc
	s_and_saveexec_b64 s[4:5], s[2:3]
	s_cbranch_execz .LBB1_2
; %bb.1:
	s_load_dwordx4 s[16:19], s[0:1], 0x98
	s_load_dwordx4 s[20:23], s[0:1], 0x60
	s_load_dwordx8 s[4:11], s[0:1], 0x20
	v_subrev_u32_e32 v4, s14, v12
	s_sub_i32 s24, s15, s14
	v_ashrrev_i32_e32 v5, 31, v4
	s_not_b32 s2, s24
	s_waitcnt lgkmcnt(0)
	s_sub_i32 s3, s5, s4
	v_lshl_add_u64 v[14:15], v[4:5], 3, s[16:17]
	v_subrev_u32_e32 v4, s4, v2
	s_add_i32 s24, s24, 1
	s_mul_i32 s2, s4, s2
	s_add_i32 s4, s3, 1
	s_mul_i32 s4, s4, s24
	s_mul_i32 s3, s4, s6
	s_add_i32 s3, s14, s3
	v_ashrrev_i32_e32 v5, 31, v4
	s_sub_i32 s5, s2, s3
	v_lshl_add_u64 v[28:29], v[4:5], 3, s[18:19]
	v_add_u32_e32 v1, s5, v12
	v_mul_lo_u32 v4, v2, s24
	v_add_u32_e32 v56, v4, v1
	v_mul_lo_u32 v50, v0, s4
	v_add_u32_e32 v6, v56, v50
	v_ashrrev_i32_e32 v7, 31, v6
	v_lshlrev_b64 v[6:7], 3, v[6:7]
	v_lshl_add_u64 v[10:11], s[20:21], 0, v[6:7]
	s_load_dwordx8 s[12:19], s[0:1], 0x40
	global_load_dwordx2 v[8:9], v[10:11], off
	v_add_u32_e32 v10, -2, v12
	v_add3_u32 v3, v50, v4, s5
	scratch_store_dword off, v10, off offset:344 ; 4-byte Folded Spill
	v_add_u32_e32 v11, -1, v12
	v_add_u32_e32 v10, v3, v10
	scratch_store_dword off, v11, off offset:352 ; 4-byte Folded Spill
	v_add_u32_e32 v16, v3, v11
	v_ashrrev_i32_e32 v11, 31, v10
	v_lshlrev_b64 v[10:11], 3, v[10:11]
	s_waitcnt lgkmcnt(0)
	v_lshl_add_u64 v[24:25], s[14:15], 0, v[10:11]
	global_load_dwordx4 v[114:117], v[14:15], off
	global_load_dwordx4 v[110:113], v[14:15], off offset:-16
	global_load_dwordx4 v[122:125], v[28:29], off
	v_lshl_add_u64 v[10:11], s[16:17], 0, v[10:11]
	global_load_dwordx2 v[32:33], v[24:25], off
	global_load_dwordx2 v[58:59], v[10:11], off
	s_sub_i32 s0, s7, s6
	s_add_i32 s0, s0, 1
	s_mul_i32 s2, s0, s4
	s_sub_i32 s6, s5, s2
	v_ashrrev_i32_e32 v13, 31, v12
	s_ashr_i32 s7, s6, 31
	v_ashrrev_i32_e32 v5, 31, v4
	v_lshl_add_u64 v[18:19], v[12:13], 0, s[6:7]
	v_ashrrev_i32_e32 v51, 31, v50
	v_lshl_add_u64 v[18:19], v[18:19], 0, v[4:5]
	s_ashr_i32 s3, s2, 31
	v_lshl_add_u64 v[18:19], v[18:19], 0, v[50:51]
	v_ashrrev_i32_e32 v17, 31, v16
                                        ; kill: killed $vgpr10_vgpr11
	v_lshl_add_u64 v[10:11], v[18:19], 0, s[2:3]
	v_lshlrev_b64 v[16:17], 3, v[16:17]
	v_lshl_add_u64 v[10:11], v[10:11], 3, s[18:19]
	v_lshl_add_u64 v[26:27], s[14:15], 0, v[16:17]
	;; [unrolled: 1-line block ×3, first 2 shown]
	v_add_u32_e32 v53, s6, v12
	v_add_u32_e32 v5, v4, v53
                                        ; kill: killed $vgpr10_vgpr11
	v_add_u32_e32 v52, v5, v50
	v_add_u32_e32 v4, 1, v12
                                        ; kill: killed $vgpr24_vgpr25
                                        ; kill: killed $vgpr16_vgpr17
                                        ; kill: killed $vgpr26_vgpr27
	v_add_u32_e32 v2, -2, v2
	v_mul_lo_u32 v51, v2, s24
	v_add3_u32 v2, v50, v51, v1
	v_add_u32_e32 v72, s24, v51
	v_add_u32_e32 v0, -2, v0
	s_lshl_b32 s3, s2, 1
	s_mov_b32 s5, 0x3fe55555
	s_waitcnt vmcnt(2)
	v_mul_f64 v[46:47], v[114:115], v[122:123]
	v_div_scale_f64 v[40:41], s[20:21], v[8:9], v[8:9], v[46:47]
	s_waitcnt vmcnt(0)
	scratch_store_dwordx2 off, v[58:59], off offset:424 ; 8-byte Folded Spill
	global_load_dwordx4 v[20:23], v[10:11], off offset:-16
	global_load_dwordx2 v[18:19], v[26:27], off
	global_load_dwordx2 v[54:55], v[16:17], off
	v_lshl_add_u64 v[10:11], s[14:15], 0, v[6:7]
	v_lshl_add_u64 v[6:7], s[16:17], 0, v[6:7]
	v_rcp_f64_e32 v[42:43], v[40:41]
	v_div_scale_f64 v[46:47], vcc, v[46:47], v[8:9], v[46:47]
	v_fma_f64 v[48:49], -v[40:41], v[42:43], 1.0
	v_fmac_f64_e32 v[42:43], v[42:43], v[48:49]
	v_fma_f64 v[48:49], -v[40:41], v[42:43], 1.0
	v_fmac_f64_e32 v[42:43], v[42:43], v[48:49]
	v_mul_f64 v[48:49], v[46:47], v[42:43]
	v_fma_f64 v[40:41], -v[40:41], v[48:49], v[46:47]
	s_waitcnt vmcnt(0)
	scratch_store_dwordx2 off, v[54:55], off offset:412 ; 8-byte Folded Spill
	global_load_dwordx2 v[38:39], v[10:11], off
	global_load_dwordx2 v[74:75], v[6:7], off
	v_add_u32_e32 v6, s2, v52
	v_ashrrev_i32_e32 v7, 31, v6
	v_lshlrev_b64 v[6:7], 3, v[6:7]
	v_lshl_add_u64 v[10:11], s[18:19], 0, v[6:7]
	v_mov_b64_e32 v[24:25], v[6:7]
	v_add_u32_e32 v6, v3, v4
	v_ashrrev_i32_e32 v7, 31, v6
	v_lshlrev_b64 v[6:7], 3, v[6:7]
	v_lshl_add_u64 v[16:17], s[14:15], 0, v[6:7]
	v_lshl_add_u64 v[6:7], s[16:17], 0, v[6:7]
	global_load_dwordx2 v[30:31], v[6:7], off
	global_load_dwordx4 v[68:71], v[10:11], off
	v_lshl_add_u64 v[34:35], s[12:13], 0, v[24:25]
	global_load_dwordx2 v[16:17], v[16:17], off
	v_div_scale_f64 v[6:7], s[0:1], v[114:115], v[114:115], 1.0
	scratch_store_dwordx2 off, v[24:25], off ; 8-byte Folded Spill
	v_div_scale_f64 v[24:25], s[0:1], v[122:123], v[122:123], 1.0
	v_rcp_f64_e32 v[36:37], v[24:25]
	scratch_store_dword off, v4, off offset:384 ; 4-byte Folded Spill
	v_div_scale_f64 v[26:27], s[0:1], 1.0, v[122:123], 1.0
	v_fma_f64 v[44:45], -v[24:25], v[36:37], 1.0
	v_fmac_f64_e32 v[36:37], v[36:37], v[44:45]
	v_add_u32_e32 v4, 2, v12
	v_add_u32_e32 v12, v3, v4
	v_ashrrev_i32_e32 v13, 31, v12
	v_lshlrev_b64 v[12:13], 3, v[12:13]
	v_ashrrev_i32_e32 v3, 31, v2
	v_lshl_add_u64 v[2:3], v[2:3], 3, s[14:15]
	s_waitcnt vmcnt(4)
	scratch_store_dwordx2 off, v[30:31], off offset:376 ; 8-byte Folded Spill
	global_load_dwordx4 v[60:63], v[34:35], off
	global_load_dwordx4 v[64:67], v[34:35], off offset:-16
	s_waitcnt vmcnt(6)
	v_mov_b64_e32 v[78:79], v[70:71]
	scratch_store_dwordx2 off, v[8:9], off offset:196 ; 8-byte Folded Spill
	v_div_fmas_f64 v[8:9], v[40:41], v[42:43], v[48:49]
	v_fma_f64 v[40:41], -v[24:25], v[36:37], 1.0
	v_fmac_f64_e32 v[36:37], v[36:37], v[40:41]
	v_mul_f64 v[40:41], v[26:27], v[36:37]
	v_fma_f64 v[24:25], -v[24:25], v[40:41], v[26:27]
	v_rcp_f64_e32 v[26:27], v[6:7]
	s_mov_b64 vcc, s[0:1]
	scratch_store_dwordx2 off, v[8:9], off offset:388 ; 8-byte Folded Spill
	v_div_fmas_f64 v[8:9], v[24:25], v[36:37], v[40:41]
	v_fma_f64 v[36:37], -v[6:7], v[26:27], 1.0
	v_fmac_f64_e32 v[26:27], v[26:27], v[36:37]
	v_fma_f64 v[36:37], -v[6:7], v[26:27], 1.0
	v_div_scale_f64 v[24:25], vcc, 1.0, v[114:115], 1.0
	v_fmac_f64_e32 v[26:27], v[26:27], v[36:37]
	v_mul_f64 v[36:37], v[24:25], v[26:27]
	v_fma_f64 v[6:7], -v[6:7], v[36:37], v[24:25]
	s_nop 0
	v_div_fmas_f64 v[6:7], v[6:7], v[26:27], v[36:37]
	scratch_store_dwordx2 off, v[6:7], off offset:432 ; 8-byte Folded Spill
	v_fma_f64 v[6:7], 2.0, v[32:33], v[58:59]
	v_mov_b64_e32 v[42:43], v[68:69]
	scratch_store_dwordx2 off, v[8:9], off offset:184 ; 8-byte Folded Spill
	scratch_store_dwordx2 off, v[6:7], off offset:396 ; 8-byte Folded Spill
	scratch_store_dwordx4 off, v[20:23], off offset:472 ; 16-byte Folded Spill
	v_mul_f64 v[6:7], v[6:7], v[20:21]
	v_mov_b64_e32 v[44:45], v[70:71]
	s_waitcnt vmcnt(11)
	v_fma_f64 v[8:9], 2.0, v[16:17], v[30:31]
	v_mul_f64 v[32:33], v[20:21], v[6:7]
	v_fma_f64 v[6:7], 2.0, v[18:19], v[54:55]
	v_mul_f64 v[16:17], v[8:9], v[44:45]
	scratch_store_dwordx2 off, v[6:7], off offset:404 ; 8-byte Folded Spill
	v_mul_f64 v[6:7], v[6:7], v[22:23]
	v_mul_f64 v[36:37], v[44:45], v[16:17]
	v_lshl_add_u64 v[16:17], s[14:15], 0, v[12:13]
	v_lshl_add_u64 v[12:13], s[16:17], 0, v[12:13]
	v_mul_f64 v[48:49], v[22:23], v[6:7]
	global_load_dwordx2 v[22:23], v[12:13], off
	v_fma_f64 v[6:7], 2.0, v[38:39], v[74:75]
	v_mul_f64 v[18:19], v[6:7], v[42:43]
	scratch_store_dwordx2 off, v[8:9], off offset:368 ; 8-byte Folded Spill
	scratch_store_dword off, v4, off offset:420 ; 4-byte Folded Spill
	v_mul_f64 v[18:19], v[42:43], v[18:19]
	v_mov_b64_e32 v[76:77], v[68:69]
	global_load_dwordx2 v[46:47], v[16:17], off
	v_mul_f64 v[18:19], v[114:115], v[18:19]
	v_mul_f64 v[24:25], v[112:113], v[48:49]
	v_fma_f64 v[26:27], v[110:111], v[32:33], v[18:19]
	v_mov_b64_e32 v[40:41], v[24:25]
	v_fmac_f64_e32 v[40:41], 0xbfe80000, v[26:27]
	v_mul_f64 v[26:27], v[116:117], v[36:37]
	v_fma_f64 v[44:45], v[110:111], v[32:33], v[26:27]
	v_lshl_add_u32 v4, s24, 1, v72
	v_add_u32_e32 v73, s24, v4
	s_mov_b32 s1, 0x3fc55555
	s_mov_b32 s0, 0x55555555
	s_waitcnt vmcnt(11)
	v_add_f64 v[12:13], v[66:67], -v[60:61]
	s_waitcnt vmcnt(3)
	scratch_store_dwordx2 off, v[22:23], off offset:560 ; 8-byte Folded Spill
	global_load_dwordx2 v[8:9], v[10:11], off offset:16
	global_load_dwordx2 v[20:21], v[14:15], off offset:16
	global_load_dwordx2 v[42:43], v[34:35], off offset:16
	global_load_dwordx2 v[68:69], v[2:3], off
	v_add_u32_e32 v2, v51, v53
	scratch_store_dword off, v2, off offset:56 ; 4-byte Folded Spill
	v_add_u32_e32 v2, v2, v50
	scratch_store_dword off, v2, off offset:52 ; 4-byte Folded Spill
	v_add_u32_e32 v2, s2, v2
	v_ashrrev_i32_e32 v3, 31, v2
	v_lshlrev_b64 v[14:15], 3, v[2:3]
	v_lshl_add_u64 v[2:3], s[18:19], 0, v[14:15]
	global_load_dwordx2 v[58:59], v[2:3], off
	v_add3_u32 v2, v50, v72, v1
	v_ashrrev_i32_e32 v3, 31, v2
	v_lshl_add_u64 v[2:3], v[2:3], 3, s[14:15]
	global_load_dwordx2 v[54:55], v[2:3], off
	v_add_u32_e32 v2, v72, v53
	scratch_store_dword off, v2, off offset:48 ; 4-byte Folded Spill
	v_add_u32_e32 v2, v2, v50
	scratch_store_dword off, v2, off offset:8 ; 4-byte Folded Spill
	v_add_u32_e32 v2, s2, v2
	v_ashrrev_i32_e32 v3, 31, v2
	v_lshlrev_b64 v[16:17], 3, v[2:3]
	v_lshl_add_u64 v[2:3], s[18:19], 0, v[16:17]
	global_load_dwordx2 v[34:35], v[2:3], off
	v_fma_f64 v[2:3], v[112:113], v[48:49], v[18:19]
	v_add_f64 v[48:49], v[64:65], -v[60:61]
	global_load_dwordx4 v[64:67], v[28:29], off offset:-16
	v_fmac_f64_e32 v[44:45], 0x40080000, v[2:3]
	s_waitcnt vmcnt(13)
	v_fma_f64 v[2:3], 2.0, v[46:47], v[22:23]
	v_mul_f64 v[12:13], v[44:45], v[12:13]
	v_fma_f64 v[10:11], v[116:117], v[36:37], v[18:19]
	v_fmac_f64_e32 v[12:13], v[40:41], v[48:49]
	v_lshl_add_u64 v[16:17], s[12:13], 0, v[16:17]
	v_lshl_add_u64 v[14:15], s[12:13], 0, v[14:15]
	s_waitcnt vmcnt(8)
	scratch_store_dwordx2 off, v[68:69], off offset:68 ; 8-byte Folded Spill
	s_waitcnt vmcnt(5)
	scratch_store_dwordx2 off, v[54:55], off offset:12 ; 8-byte Folded Spill
	scratch_store_dwordx2 off, v[2:3], off offset:552 ; 8-byte Folded Spill
	;; [unrolled: 1-line block ×3, first 2 shown]
	v_mul_f64 v[2:3], v[2:3], v[8:9]
	v_mul_f64 v[2:3], v[8:9], v[2:3]
	v_fmac_f64_e32 v[24:25], v[20:21], v[2:3]
	v_fmac_f64_e32 v[24:25], 0x40080000, v[10:11]
	v_add_f64 v[10:11], v[62:63], -v[60:61]
	v_fmac_f64_e32 v[18:19], v[20:21], v[2:3]
	v_fmac_f64_e32 v[12:13], v[24:25], v[10:11]
	;; [unrolled: 1-line block ×3, first 2 shown]
	v_add_f64 v[2:3], v[42:43], -v[60:61]
	v_fmac_f64_e32 v[12:13], v[26:27], v[2:3]
	v_mul_f64 v[2:3], v[68:69], v[58:59]
	v_mul_f64 v[126:127], v[58:59], v[2:3]
	s_waitcnt vmcnt(5)
	v_mul_f64 v[2:3], v[54:55], v[34:35]
	scratch_store_dwordx2 off, v[34:35], off offset:20 ; 8-byte Folded Spill
	v_mul_f64 v[8:9], v[34:35], v[2:3]
	v_mul_f64 v[2:3], v[38:39], v[76:77]
	s_waitcnt vmcnt(5)
	v_mov_b64_e32 v[34:35], v[64:65]
	v_mul_f64 v[2:3], v[76:77], v[2:3]
	v_mov_b64_e32 v[36:37], v[66:67]
	v_mul_f64 v[18:19], v[122:123], v[2:3]
	v_mul_f64 v[24:25], v[36:37], v[8:9]
	v_fma_f64 v[2:3], v[34:35], v[126:127], v[18:19]
	v_mov_b64_e32 v[30:31], v[24:25]
	v_fmac_f64_e32 v[30:31], 0xbfe80000, v[2:3]
	v_add3_u32 v2, v50, v4, v1
	v_ashrrev_i32_e32 v3, 31, v2
	v_lshl_add_u64 v[2:3], v[2:3], 3, s[14:15]
	global_load_dwordx2 v[26:27], v[2:3], off
	v_add_u32_e32 v2, v4, v53
	scratch_store_dword off, v2, off offset:140 ; 4-byte Folded Spill
	v_add_u32_e32 v2, v2, v50
	scratch_store_dword off, v2, off offset:44 ; 4-byte Folded Spill
	v_add_u32_e32 v2, s2, v2
	v_ashrrev_i32_e32 v3, 31, v2
	v_lshlrev_b64 v[2:3], 3, v[2:3]
	v_lshl_add_u64 v[10:11], s[18:19], 0, v[2:3]
	global_load_dwordx2 v[40:41], v[10:11], off
	v_lshl_add_u64 v[2:3], s[12:13], 0, v[2:3]
	scratch_store_dwordx2 off, v[20:21], off offset:328 ; 8-byte Folded Spill
	scratch_store_dwordx2 off, v[58:59], off offset:60 ; 8-byte Folded Spill
	scratch_store_dwordx4 off, v[76:79], off offset:576 ; 16-byte Folded Spill
	scratch_store_dwordx2 off, v[8:9], off offset:592 ; 8-byte Folded Spill
	scratch_store_dwordx2 off, v[126:127], off offset:624 ; 8-byte Folded Spill
	s_waitcnt vmcnt(8)
	scratch_store_dwordx2 off, v[26:27], off offset:28 ; 8-byte Folded Spill
	s_waitcnt vmcnt(6)
	v_mul_f64 v[10:11], v[26:27], v[40:41]
	v_mul_f64 v[20:21], v[40:41], v[10:11]
	scratch_store_dwordx2 off, v[40:41], off offset:36 ; 8-byte Folded Spill
	scratch_store_dwordx2 off, v[20:21], off offset:600 ; 8-byte Folded Spill
	scratch_store_dwordx4 off, v[34:37], off offset:92 ; 16-byte Folded Spill
	global_load_dwordx2 v[16:17], v[16:17], off
	v_mul_f64 v[10:11], v[124:125], v[20:21]
	global_load_dwordx2 v[14:15], v[14:15], off
	v_fma_f64 v[26:27], v[34:35], v[126:127], v[10:11]
	v_fma_f64 v[34:35], v[36:37], v[8:9], v[18:19]
	v_fmac_f64_e32 v[26:27], 0x40080000, v[34:35]
	global_load_dwordx2 v[2:3], v[2:3], off
	s_waitcnt vmcnt(2)
	v_add_f64 v[16:17], v[16:17], -v[60:61]
	v_mul_f64 v[8:9], v[26:27], v[16:17]
	s_waitcnt vmcnt(1)
	v_add_f64 v[14:15], v[14:15], -v[60:61]
	v_fmac_f64_e32 v[8:9], v[30:31], v[14:15]
	v_add_u32_e32 v14, v73, v53
	scratch_store_dword off, v14, off offset:208 ; 4-byte Folded Spill
	v_add_u32_e32 v14, v14, v50
	scratch_store_dword off, v14, off offset:192 ; 4-byte Folded Spill
	v_add_u32_e32 v14, s2, v14
	v_add3_u32 v26, v50, v73, v1
	v_ashrrev_i32_e32 v15, 31, v14
	v_ashrrev_i32_e32 v27, 31, v26
	v_lshlrev_b64 v[14:15], 3, v[14:15]
	v_lshl_add_u64 v[26:27], v[26:27], 3, s[14:15]
	global_load_dwordx2 v[30:31], v[26:27], off
	v_lshl_add_u64 v[26:27], s[18:19], 0, v[14:15]
	global_load_dwordx2 v[34:35], v[26:27], off
	global_load_dwordx2 v[40:41], v[28:29], off offset:16
	s_waitcnt vmcnt(5)
	v_add_f64 v[2:3], v[2:3], -v[60:61]
	v_mul_lo_u32 v1, v0, s4
	v_add_u32_e32 v0, v1, v56
	s_waitcnt vmcnt(2)
	scratch_store_dwordx2 off, v[30:31], off offset:152 ; 8-byte Folded Spill
	s_waitcnt vmcnt(2)
	v_mul_f64 v[26:27], v[30:31], v[34:35]
	v_mul_f64 v[126:127], v[34:35], v[26:27]
	s_waitcnt vmcnt(1)
	v_fmac_f64_e32 v[24:25], v[40:41], v[126:127]
	v_fma_f64 v[26:27], v[124:125], v[20:21], v[18:19]
	v_fmac_f64_e32 v[24:25], 0x40080000, v[26:27]
	v_fmac_f64_e32 v[8:9], v[24:25], v[2:3]
	v_lshl_add_u64 v[2:3], s[12:13], 0, v[14:15]
	global_load_dwordx2 v[2:3], v[2:3], off
	v_fmac_f64_e32 v[18:19], v[40:41], v[126:127]
	v_mov_b32_e32 v14, v1
	v_ashrrev_i32_e32 v1, 31, v0
	v_fmac_f64_e32 v[10:11], 0xbfe80000, v[18:19]
	v_lshlrev_b64 v[0:1], 3, v[0:1]
	v_add_u32_e32 v16, v14, v5
	v_mov_b32_e32 v18, v14
	scratch_store_dwordx2 off, v[34:35], off offset:160 ; 8-byte Folded Spill
	scratch_store_dword off, v18, off offset:212 ; 4-byte Folded Spill
	scratch_store_dwordx2 off, v[40:41], off offset:144 ; 8-byte Folded Spill
	s_waitcnt vmcnt(3)
	v_add_f64 v[2:3], v[2:3], -v[60:61]
	v_fmac_f64_e32 v[8:9], v[10:11], v[2:3]
	v_lshl_add_u64 v[2:3], s[14:15], 0, v[0:1]
	v_lshl_add_u64 v[0:1], s[16:17], 0, v[0:1]
	global_load_dwordx2 v[10:11], v[0:1], off
	v_add_u32_e32 v0, s3, v16
	v_ashrrev_i32_e32 v1, 31, v0
	v_lshlrev_b64 v[64:65], 3, v[0:1]
	global_load_dwordx2 v[70:71], v[2:3], off
	v_lshl_add_u64 v[2:3], s[18:19], 0, v[64:65]
	v_add_u32_e32 v0, s2, v0
	global_load_dwordx2 v[14:15], v[2:3], off
	v_ashrrev_i32_e32 v1, 31, v0
	v_lshlrev_b64 v[82:83], 3, v[0:1]
	v_lshl_add_u64 v[2:3], s[18:19], 0, v[82:83]
	global_load_dwordx2 v[26:27], v[2:3], off
	v_add_u32_e32 v0, s2, v0
	v_ashrrev_i32_e32 v1, 31, v0
	v_lshl_add_u64 v[0:1], v[0:1], 3, s[18:19]
	global_load_dwordx2 v[34:35], v[0:1], off
	s_waitcnt vmcnt(4)
	v_mov_b64_e32 v[92:93], v[10:11]
	scratch_store_dwordx2 off, v[92:93], off offset:124 ; 8-byte Folded Spill
	s_waitcnt vmcnt(4)
	v_fma_f64 v[0:1], 2.0, v[70:71], v[10:11]
	scratch_store_dwordx2 off, v[70:71], off offset:256 ; 8-byte Folded Spill
	s_waitcnt vmcnt(4)
	v_mov_b64_e32 v[2:3], v[14:15]
	v_mul_f64 v[0:1], v[0:1], v[2:3]
	scratch_store_dwordx2 off, v[0:1], off offset:608 ; 8-byte Folded Spill
	v_mul_f64 v[0:1], v[114:115], v[0:1]
	v_mul_f64 v[0:1], v[2:3], v[0:1]
	s_waitcnt vmcnt(4)
	v_mul_f64 v[2:3], v[122:123], v[26:27]
	v_mul_f64 v[2:3], v[26:27], v[2:3]
	;; [unrolled: 1-line block ×3, first 2 shown]
	s_waitcnt vmcnt(3)
	v_fmac_f64_e32 v[2:3], v[34:35], v[34:35]
	v_mul_f64 v[2:3], v[70:71], v[2:3]
	v_fmac_f64_e32 v[2:3], v[114:115], v[0:1]
	v_add_u32_e32 v1, s4, v18
	v_add_u32_e32 v0, v1, v56
	v_mov_b32_e32 v18, v1
	v_ashrrev_i32_e32 v1, 31, v0
	v_lshlrev_b64 v[0:1], 3, v[0:1]
	v_lshl_add_u64 v[10:11], s[14:15], 0, v[0:1]
	v_lshl_add_u64 v[0:1], s[16:17], 0, v[0:1]
	v_add_u32_e32 v54, v18, v5
	v_mov_b64_e32 v[94:95], v[14:15]
	global_load_dwordx2 v[14:15], v[0:1], off
	v_add_u32_e32 v0, s3, v54
	v_ashrrev_i32_e32 v1, 31, v0
	v_lshlrev_b64 v[66:67], 3, v[0:1]
	global_load_dwordx2 v[30:31], v[10:11], off
	v_lshl_add_u64 v[10:11], s[18:19], 0, v[66:67]
	v_add_u32_e32 v0, s2, v0
	v_mov_b32_e32 v24, v18
	global_load_dwordx2 v[18:19], v[10:11], off
	v_ashrrev_i32_e32 v1, 31, v0
	v_lshlrev_b64 v[84:85], 3, v[0:1]
	v_lshl_add_u64 v[10:11], s[18:19], 0, v[84:85]
	global_load_dwordx2 v[118:119], v[10:11], off
	v_add_u32_e32 v0, s2, v0
	v_ashrrev_i32_e32 v1, 31, v0
	v_lshl_add_u64 v[0:1], v[0:1], 3, s[18:19]
	global_load_dwordx2 v[106:107], v[0:1], off
	v_lshl_add_u64 v[62:63], s[12:13], 0, v[66:67]
	scratch_store_dword off, v24, off offset:204 ; 4-byte Folded Spill
	scratch_store_dwordx2 off, v[94:95], off offset:132 ; 8-byte Folded Spill
	scratch_store_dwordx2 off, v[26:27], off offset:264 ; 8-byte Folded Spill
	;; [unrolled: 1-line block ×3, first 2 shown]
	s_waitcnt vmcnt(8)
	v_mov_b64_e32 v[96:97], v[14:15]
	scratch_store_dwordx2 off, v[96:97], off offset:76 ; 8-byte Folded Spill
	s_waitcnt vmcnt(8)
	v_fma_f64 v[0:1], 2.0, v[30:31], v[14:15]
	v_mov_b64_e32 v[28:29], v[30:31]
	scratch_store_dwordx2 off, v[28:29], off offset:232 ; 8-byte Folded Spill
	s_waitcnt vmcnt(8)
	v_mov_b64_e32 v[10:11], v[18:19]
	v_mul_f64 v[0:1], v[0:1], v[10:11]
	scratch_store_dwordx2 off, v[0:1], off offset:632 ; 8-byte Folded Spill
	v_mul_f64 v[0:1], v[114:115], v[0:1]
	v_mul_f64 v[0:1], v[10:11], v[0:1]
	s_waitcnt vmcnt(8)
	v_mul_f64 v[10:11], v[122:123], v[118:119]
	v_mul_f64 v[10:11], v[118:119], v[10:11]
	;; [unrolled: 1-line block ×3, first 2 shown]
	s_waitcnt vmcnt(7)
	v_fmac_f64_e32 v[10:11], v[106:107], v[106:107]
	v_mul_f64 v[10:11], v[30:31], v[10:11]
	v_fmac_f64_e32 v[10:11], v[114:115], v[0:1]
	v_add_u32_e32 v0, s3, v52
	v_ashrrev_i32_e32 v1, 31, v0
	v_lshlrev_b64 v[68:69], 3, v[0:1]
	v_add_u32_e32 v0, s2, v0
	v_ashrrev_i32_e32 v1, 31, v0
	v_lshlrev_b64 v[86:87], 3, v[0:1]
	v_add_u32_e32 v0, s2, v0
	v_ashrrev_i32_e32 v1, 31, v0
	v_lshl_add_u64 v[14:15], s[18:19], 0, v[68:69]
	v_lshl_add_u64 v[0:1], v[0:1], 3, s[18:19]
	scratch_store_dwordx2 off, v[14:15], off offset:768 ; 8-byte Folded Spill
	global_load_dwordx4 v[44:47], v[14:15], off
	global_load_dwordx4 v[78:81], v[0:1], off
	v_lshl_add_u64 v[14:15], s[18:19], 0, v[86:87]
	global_load_dwordx4 v[40:43], v[14:15], off
	v_mov_b64_e32 v[98:99], v[18:19]
	scratch_store_dwordx2 off, v[14:15], off offset:760 ; 8-byte Folded Spill
	scratch_store_dwordx2 off, v[0:1], off offset:360 ; 8-byte Folded Spill
	v_lshl_add_u32 v18, s4, 1, v24
	v_add_u32_e32 v57, v18, v5
	v_mov_b32_e32 v30, v18
	scratch_store_dword off, v30, off offset:216 ; 4-byte Folded Spill
	scratch_store_dwordx2 off, v[98:99], off offset:84 ; 8-byte Folded Spill
	scratch_store_dwordx2 off, v[118:119], off offset:240 ; 8-byte Folded Spill
	scratch_store_dwordx2 off, v[106:107], off offset:220 ; 8-byte Folded Spill
	s_waitcnt vmcnt(8)
	v_mul_f64 v[6:7], v[6:7], v[44:45]
	v_mul_f64 v[6:7], v[114:115], v[6:7]
	;; [unrolled: 1-line block ×3, first 2 shown]
	s_waitcnt vmcnt(6)
	v_mul_f64 v[14:15], v[122:123], v[40:41]
	v_mul_f64 v[14:15], v[40:41], v[14:15]
	v_mul_f64 v[14:15], v[122:123], v[14:15]
	v_fmac_f64_e32 v[14:15], v[78:79], v[78:79]
	v_mul_f64 v[0:1], v[38:39], v[14:15]
	v_fmac_f64_e32 v[0:1], v[114:115], v[6:7]
	v_add_u32_e32 v6, v18, v56
	v_ashrrev_i32_e32 v7, 31, v6
	v_lshlrev_b64 v[6:7], 3, v[6:7]
	v_lshl_add_u64 v[14:15], s[14:15], 0, v[6:7]
	global_load_dwordx2 v[22:23], v[14:15], off
	v_add_u32_e32 v14, s3, v57
	v_lshl_add_u64 v[6:7], s[16:17], 0, v[6:7]
	v_ashrrev_i32_e32 v15, 31, v14
	global_load_dwordx2 v[24:25], v[6:7], off
	v_lshlrev_b64 v[6:7], 3, v[14:15]
	v_add_u32_e32 v14, s2, v14
	v_ashrrev_i32_e32 v15, 31, v14
	v_lshl_add_u64 v[18:19], s[18:19], 0, v[6:7]
	v_lshlrev_b64 v[88:89], 3, v[14:15]
	v_add_u32_e32 v14, s2, v14
	global_load_dwordx2 v[36:37], v[18:19], off
	v_ashrrev_i32_e32 v15, 31, v14
	v_lshl_add_u64 v[14:15], v[14:15], 3, s[18:19]
	global_load_dwordx2 v[20:21], v[14:15], off
	v_lshl_add_u64 v[18:19], s[18:19], 0, v[88:89]
	global_load_dwordx2 v[48:49], v[18:19], off
	s_waitcnt vmcnt(3)
	v_fma_f64 v[14:15], 2.0, v[22:23], v[24:25]
	v_mov_b64_e32 v[100:101], v[24:25]
	scratch_store_dwordx4 off, v[78:81], off offset:312 ; 16-byte Folded Spill
	scratch_store_dwordx2 off, v[22:23], off offset:248 ; 8-byte Folded Spill
	scratch_store_dwordx2 off, v[100:101], off offset:108 ; 8-byte Folded Spill
	s_waitcnt vmcnt(5)
	v_mov_b64_e32 v[18:19], v[36:37]
	v_mul_f64 v[14:15], v[14:15], v[18:19]
	scratch_store_dwordx2 off, v[14:15], off offset:640 ; 8-byte Folded Spill
	v_mul_f64 v[14:15], v[114:115], v[14:15]
	v_mul_f64 v[14:15], v[18:19], v[14:15]
	s_waitcnt vmcnt(4)
	v_mul_f64 v[18:19], v[122:123], v[48:49]
	v_mul_f64 v[18:19], v[48:49], v[18:19]
	;; [unrolled: 1-line block ×3, first 2 shown]
	v_fmac_f64_e32 v[18:19], v[20:21], v[20:21]
	v_mul_f64 v[24:25], v[22:23], v[18:19]
	v_fmac_f64_e32 v[24:25], v[114:115], v[14:15]
	v_add_f64 v[14:15], v[2:3], v[0:1]
	v_mov_b64_e32 v[18:19], v[10:11]
	v_fmac_f64_e32 v[18:19], 0xbfe80000, v[14:15]
	v_add_f64 v[2:3], v[2:3], v[24:25]
	v_add_f64 v[14:15], v[10:11], v[0:1]
	v_fmac_f64_e32 v[2:3], 0x40080000, v[14:15]
	v_add_u32_e32 v14, s2, v54
	v_ashrrev_i32_e32 v15, 31, v14
	v_lshlrev_b64 v[14:15], 3, v[14:15]
	v_lshl_add_u64 v[120:121], s[12:13], 0, v[14:15]
	global_load_dwordx4 v[52:55], v[120:121], off
	v_mov_b64_e32 v[102:103], v[36:37]
	scratch_store_dwordx2 off, v[14:15], off offset:648 ; 8-byte Folded Spill
	v_add_u32_e32 v36, s4, v30
	v_add_u32_e32 v5, v36, v5
	scratch_store_dword off, v36, off offset:228 ; 4-byte Folded Spill
	scratch_store_dwordx2 off, v[102:103], off offset:116 ; 8-byte Folded Spill
	scratch_store_dwordx2 off, v[48:49], off offset:272 ; 8-byte Folded Spill
	;; [unrolled: 1-line block ×3, first 2 shown]
	s_mov_b32 s4, s0
	s_waitcnt vmcnt(5)
	v_add_f64 v[14:15], v[52:53], -v[60:61]
	v_mul_f64 v[2:3], v[2:3], v[14:15]
	v_add_u32_e32 v14, s2, v16
	v_ashrrev_i32_e32 v15, 31, v14
	v_lshlrev_b64 v[14:15], 3, v[14:15]
	v_lshl_add_u64 v[80:81], s[12:13], 0, v[14:15]
	scratch_store_dwordx4 off, v[52:55], off offset:656 ; 16-byte Folded Spill
	global_load_dwordx4 v[52:55], v[80:81], off
	s_nop 0
	scratch_store_dwordx2 off, v[14:15], off offset:672 ; 8-byte Folded Spill
	s_waitcnt vmcnt(1)
	v_add_f64 v[14:15], v[52:53], -v[60:61]
	v_fmac_f64_e32 v[2:3], v[18:19], v[14:15]
	v_add_u32_e32 v14, v36, v56
	v_ashrrev_i32_e32 v15, 31, v14
	v_lshlrev_b64 v[14:15], 3, v[14:15]
	v_lshl_add_u64 v[18:19], s[14:15], 0, v[14:15]
	v_lshl_add_u64 v[14:15], s[16:17], 0, v[14:15]
	global_load_dwordx2 v[30:31], v[14:15], off
	v_add_u32_e32 v14, s3, v5
	v_ashrrev_i32_e32 v15, 31, v14
	v_lshlrev_b64 v[76:77], 3, v[14:15]
	scratch_store_dwordx4 off, v[52:55], off offset:680 ; 16-byte Folded Spill
	global_load_dwordx2 v[54:55], v[18:19], off
	v_lshl_add_u64 v[18:19], s[18:19], 0, v[76:77]
	v_add_u32_e32 v14, s2, v14
	global_load_dwordx2 v[36:37], v[18:19], off
	v_ashrrev_i32_e32 v15, 31, v14
	v_lshlrev_b64 v[90:91], 3, v[14:15]
	v_lshl_add_u64 v[18:19], s[18:19], 0, v[90:91]
	global_load_dwordx2 v[32:33], v[18:19], off
	v_add_u32_e32 v14, s2, v14
	v_ashrrev_i32_e32 v15, 31, v14
	v_lshl_add_u64 v[14:15], v[14:15], 3, s[18:19]
	global_load_dwordx2 v[16:17], v[14:15], off
	s_waitcnt vmcnt(5)
	v_mov_b64_e32 v[52:53], v[30:31]
	scratch_store_dwordx2 off, v[52:53], off offset:168 ; 8-byte Folded Spill
	s_waitcnt vmcnt(4)
	v_fma_f64 v[14:15], 2.0, v[54:55], v[30:31]
	v_mov_b64_e32 v[108:109], v[54:55]
	v_lshl_add_u64 v[30:31], s[12:13], 0, v[76:77]
	s_waitcnt vmcnt(3)
	v_mov_b64_e32 v[18:19], v[36:37]
	v_mul_f64 v[14:15], v[14:15], v[18:19]
	scratch_store_dwordx2 off, v[14:15], off offset:704 ; 8-byte Folded Spill
	v_mul_f64 v[14:15], v[114:115], v[14:15]
	v_mul_f64 v[14:15], v[18:19], v[14:15]
	s_waitcnt vmcnt(3)
	v_mul_f64 v[18:19], v[122:123], v[32:33]
	v_mul_f64 v[18:19], v[32:33], v[18:19]
	;; [unrolled: 1-line block ×3, first 2 shown]
	s_waitcnt vmcnt(2)
	v_fmac_f64_e32 v[18:19], v[16:17], v[16:17]
	v_mov_b64_e32 v[104:105], v[36:37]
	v_mul_f64 v[36:37], v[54:55], v[18:19]
	v_fmac_f64_e32 v[36:37], v[114:115], v[14:15]
	v_add_f64 v[10:11], v[10:11], v[36:37]
	v_add_f64 v[14:15], v[0:1], v[24:25]
	v_fmac_f64_e32 v[10:11], 0x40080000, v[14:15]
	v_add_u32_e32 v14, s2, v57
	v_ashrrev_i32_e32 v15, 31, v14
	v_lshlrev_b64 v[14:15], 3, v[14:15]
	v_lshl_add_u64 v[58:59], s[12:13], 0, v[14:15]
	global_load_dwordx4 v[54:57], v[58:59], off
	v_add_f64 v[0:1], v[0:1], v[36:37]
	v_fmac_f64_e32 v[24:25], 0xbfe80000, v[0:1]
	v_add_u32_e32 v0, s2, v5
	v_ashrrev_i32_e32 v1, 31, v0
	v_lshlrev_b64 v[36:37], 3, v[0:1]
	v_lshl_add_u64 v[18:19], s[12:13], 0, v[36:37]
	scratch_store_dwordx2 off, v[14:15], off offset:696 ; 8-byte Folded Spill
	scratch_store_dwordx2 off, v[104:105], off offset:176 ; 8-byte Folded Spill
	scratch_store_dwordx2 off, v[108:109], off offset:280 ; 8-byte Folded Spill
	scratch_store_dwordx2 off, v[32:33], off offset:304 ; 8-byte Folded Spill
	scratch_store_dwordx2 off, v[16:17], off offset:336 ; 8-byte Folded Spill
	s_waitcnt vmcnt(5)
	scratch_store_dwordx4 off, v[54:57], off offset:712 ; 16-byte Folded Spill
	v_add_f64 v[14:15], v[54:55], -v[60:61]
	global_load_dwordx4 v[54:57], v[18:19], off
	v_fmac_f64_e32 v[2:3], v[14:15], v[10:11]
	s_waitcnt vmcnt(0)
	v_add_f64 v[0:1], v[54:55], -v[60:61]
	v_fmac_f64_e32 v[2:3], v[0:1], v[24:25]
	scratch_load_dwordx2 v[0:1], off, off offset:184 ; 8-byte Folded Reload
	s_nop 0
	scratch_store_dwordx4 off, v[54:57], off offset:744 ; 16-byte Folded Spill
	s_nop 1
	v_lshl_add_u64 v[54:55], s[12:13], 0, v[64:65]
	global_load_dwordx4 v[64:67], v[54:55], off
	s_waitcnt vmcnt(2)
	v_div_fixup_f64 v[56:57], v[0:1], v[122:123], 1.0
	scratch_load_dwordx2 v[0:1], off, off offset:432 ; 8-byte Folded Reload
	s_waitcnt vmcnt(0)
	v_div_fixup_f64 v[10:11], v[0:1], v[114:115], 1.0
	v_mul_f64 v[0:1], v[12:13], s[0:1]
	v_fma_f64 v[12:13], v[56:57], v[0:1], 0
	v_mul_f64 v[0:1], v[8:9], s[0:1]
	v_fmac_f64_e32 v[12:13], v[10:11], v[0:1]
	v_mul_f64 v[0:1], v[2:3], s[0:1]
	v_mul_f64 v[2:3], v[10:11], v[56:57]
	v_fmac_f64_e32 v[12:13], v[2:3], v[0:1]
	v_mov_b64_e32 v[8:9], v[12:13]
	v_add_f64 v[0:1], v[38:39], v[74:75]
	v_add_f64 v[12:13], v[28:29], v[96:97]
	;; [unrolled: 1-line block ×3, first 2 shown]
	v_mul_f64 v[38:39], v[12:13], v[98:99]
	v_mul_f64 v[0:1], v[0:1], v[44:45]
	;; [unrolled: 1-line block ×5, first 2 shown]
	v_fma_f64 v[12:13], v[2:3], v[26:27], v[40:41]
	v_mov_b64_e32 v[70:71], v[74:75]
	v_fmac_f64_e32 v[70:71], 0xbfe80000, v[12:13]
	v_add_f64 v[12:13], v[22:23], v[100:101]
	v_mul_f64 v[92:93], v[12:13], v[102:103]
	v_mul_f64 v[94:95], v[92:93], v[48:49]
	v_fma_f64 v[12:13], v[2:3], v[26:27], v[94:95]
	v_fma_f64 v[14:15], v[38:39], v[118:119], v[40:41]
	v_fmac_f64_e32 v[12:13], 0x40080000, v[14:15]
	v_lshl_add_u64 v[14:15], s[12:13], 0, v[68:69]
	global_load_dwordx2 v[96:97], v[14:15], off
	global_load_dwordx4 v[22:25], v[62:63], off
	v_mul_f64 v[0:1], v[0:1], v[78:79]
	scratch_store_dwordx2 off, v[10:11], off offset:184 ; 8-byte Folded Spill
	v_fma_f64 v[60:61], v[2:3], v[34:35], v[0:1]
	v_mov_b64_e32 v[26:27], v[80:81]
	s_waitcnt vmcnt(1)
	v_add_f64 v[14:15], v[22:23], -v[96:97]
	scratch_store_dwordx4 off, v[22:25], off offset:728 ; 16-byte Folded Spill
	v_mul_f64 v[44:45], v[12:13], v[14:15]
	v_add_f64 v[12:13], v[64:65], -v[96:97]
	v_lshl_add_u64 v[24:25], s[12:13], 0, v[6:7]
	v_fmac_f64_e32 v[44:45], v[70:71], v[12:13]
	global_load_dwordx4 v[68:71], v[24:25], off
	v_add_f64 v[12:13], v[108:109], v[52:53]
	v_mul_f64 v[64:65], v[12:13], v[104:105]
	v_fmac_f64_e32 v[74:75], v[64:65], v[32:33]
	v_fma_f64 v[12:13], v[92:93], v[48:49], v[40:41]
	v_fmac_f64_e32 v[74:75], 0x40080000, v[12:13]
	v_fmac_f64_e32 v[40:41], v[64:65], v[32:33]
	;; [unrolled: 1-line block ×3, first 2 shown]
	scratch_load_dwordx2 v[22:23], off, off offset:768 ; 8-byte Folded Reload
	s_waitcnt vmcnt(1)
	v_add_f64 v[6:7], v[68:69], -v[96:97]
	v_fmac_f64_e32 v[44:45], v[74:75], v[6:7]
	global_load_dwordx4 v[74:77], v[30:31], off
	v_lshl_add_u64 v[6:7], s[12:13], 0, v[84:85]
	global_load_dwordx4 v[10:13], v[6:7], off
	s_waitcnt vmcnt(1)
	v_add_f64 v[40:41], v[74:75], -v[96:97]
	v_fmac_f64_e32 v[44:45], v[94:95], v[40:41]
	v_mul_f64 v[94:95], v[92:93], v[20:21]
	v_mul_f64 v[40:41], v[38:39], v[106:107]
	v_fma_f64 v[2:3], v[2:3], v[34:35], v[94:95]
	v_fma_f64 v[38:39], v[38:39], v[106:107], v[0:1]
	v_fmac_f64_e32 v[2:3], 0x40080000, v[38:39]
	v_lshl_add_u64 v[38:39], s[12:13], 0, v[86:87]
	global_load_dwordx2 v[86:87], v[38:39], off
	v_mov_b64_e32 v[68:69], v[40:41]
	v_fmac_f64_e32 v[68:69], 0xbfe80000, v[60:61]
	s_waitcnt vmcnt(1)
	scratch_store_dwordx4 off, v[10:13], off offset:432 ; 16-byte Folded Spill
	v_fmac_f64_e32 v[40:41], v[64:65], v[16:17]
	scratch_store_dwordx2 off, v[6:7], off offset:456 ; 8-byte Folded Spill
	v_fmac_f64_e32 v[8:9], s[0:1], v[44:45]
	s_waitcnt vmcnt(2)
	v_add_f64 v[38:39], v[10:11], -v[86:87]
	v_mul_f64 v[60:61], v[2:3], v[38:39]
	v_lshl_add_u64 v[2:3], s[12:13], 0, v[82:83]
	global_load_dwordx4 v[10:13], v[2:3], off
	s_nop 0
	scratch_store_dwordx2 off, v[2:3], off offset:528 ; 8-byte Folded Spill
	s_waitcnt vmcnt(1)
	v_add_f64 v[2:3], v[10:11], -v[86:87]
	v_fmac_f64_e32 v[60:61], v[68:69], v[2:3]
	v_fma_f64 v[2:3], v[92:93], v[20:21], v[0:1]
	v_fmac_f64_e32 v[40:41], 0x40080000, v[2:3]
	v_lshl_add_u64 v[2:3], s[12:13], 0, v[88:89]
	scratch_store_dwordx4 off, v[10:13], off offset:512 ; 16-byte Folded Spill
	global_load_dwordx4 v[10:13], v[2:3], off
	v_fmac_f64_e32 v[0:1], v[64:65], v[16:17]
	scratch_store_dwordx2 off, v[2:3], off offset:488 ; 8-byte Folded Spill
	v_fmac_f64_e32 v[94:95], 0xbfe80000, v[0:1]
	v_lshl_add_u64 v[0:1], s[12:13], 0, v[90:91]
	scratch_store_dwordx2 off, v[0:1], off offset:616 ; 8-byte Folded Spill
	v_mov_b64_e32 v[20:21], v[120:121]
	s_waitcnt vmcnt(2)
	v_add_f64 v[2:3], v[10:11], -v[86:87]
	v_fmac_f64_e32 v[60:61], v[40:41], v[2:3]
	global_load_dwordx4 v[0:3], v[0:1], off
	s_nop 0
	scratch_store_dwordx4 off, v[10:13], off offset:496 ; 16-byte Folded Spill
	s_waitcnt vmcnt(1)
	scratch_store_dwordx4 off, v[0:3], off offset:536 ; 16-byte Folded Spill
	s_nop 1
	v_add_f64 v[0:1], v[0:1], -v[86:87]
	v_fmac_f64_e32 v[60:61], v[94:95], v[0:1]
	global_load_dwordx4 v[82:85], v[22:23], off offset:-16
	scratch_load_dwordx2 v[0:1], off, off offset:396 ; 8-byte Folded Reload
	scratch_load_dwordx2 v[2:3], off, off offset:404 ; 8-byte Folded Reload
	s_waitcnt vmcnt(1)
	v_mul_f64 v[0:1], v[0:1], v[82:83]
	s_waitcnt vmcnt(0)
	v_mul_f64 v[38:39], v[2:3], v[84:85]
	v_mul_f64 v[2:3], v[60:61], s[0:1]
	scratch_store_dwordx2 off, v[8:9], off offset:404 ; 8-byte Folded Spill
	scratch_store_dwordx2 off, v[2:3], off offset:396 ; 8-byte Folded Spill
	global_load_dwordx4 v[102:105], v[80:81], off offset:-16
	global_load_dwordx4 v[106:109], v[18:19], off offset:-16
	;; [unrolled: 1-line block ×4, first 2 shown]
	scratch_load_dwordx4 v[12:15], off, off offset:472 ; 16-byte Folded Reload
	global_load_dwordx4 v[82:85], v[54:55], off offset:-16
	global_load_dwordx4 v[90:93], v[30:31], off offset:-16
	;; [unrolled: 1-line block ×4, first 2 shown]
	scratch_load_dwordx2 v[48:49], off, off offset:760 ; 8-byte Folded Reload
	s_mov_b32 s1, 0x3fb55555
	s_waitcnt vmcnt(8)
	v_add_f64 v[2:3], v[106:107], -v[102:103]
	v_mul_f64 v[2:3], v[2:3], s[0:1]
	s_waitcnt vmcnt(6)
	v_add_f64 v[44:45], v[98:99], -v[94:95]
	v_fma_f64 v[2:3], v[44:45], s[4:5], -v[2:3]
	s_waitcnt vmcnt(5)
	v_mul_f64 v[0:1], v[12:13], v[0:1]
	v_mul_f64 v[60:61], v[2:3], v[0:1]
	s_waitcnt vmcnt(3)
	v_add_f64 v[0:1], v[90:91], -v[82:83]
	v_mul_f64 v[0:1], v[0:1], s[0:1]
	s_waitcnt vmcnt(1)
	v_add_f64 v[2:3], v[86:87], -v[78:79]
	v_fma_f64 v[44:45], v[2:3], s[4:5], -v[0:1]
	s_waitcnt vmcnt(0)
	global_load_dwordx4 v[0:3], v[48:49], off offset:-16
	scratch_load_dwordx2 v[6:7], off, off offset:424 ; 8-byte Folded Reload
	scratch_load_dwordx2 v[10:11], off, off offset:412 ; 8-byte Folded Reload
	v_mul_f64 v[38:39], v[14:15], v[38:39]
	s_waitcnt vmcnt(1)
	v_mul_f64 v[0:1], v[6:7], v[0:1]
	v_mul_f64 v[0:1], v[12:13], v[0:1]
	;; [unrolled: 1-line block ×4, first 2 shown]
	v_fmac_f64_e32 v[0:1], v[110:111], v[60:61]
	scratch_store_dwordx2 off, v[0:1], off offset:448 ; 8-byte Folded Spill
	v_add_f64 v[0:1], v[108:109], -v[104:105]
	v_mul_f64 v[0:1], v[0:1], s[0:1]
	v_add_f64 v[60:61], v[100:101], -v[96:97]
	v_fma_f64 v[0:1], v[60:61], s[4:5], -v[0:1]
	v_mul_f64 v[0:1], v[0:1], v[38:39]
	v_add_f64 v[38:39], v[92:93], -v[84:85]
	s_waitcnt vmcnt(1)
	v_mul_f64 v[2:3], v[10:11], v[2:3]
	v_mul_f64 v[38:39], v[38:39], s[0:1]
	v_add_f64 v[60:61], v[88:89], -v[80:81]
	v_fma_f64 v[38:39], v[60:61], s[4:5], -v[38:39]
	v_mul_f64 v[2:3], v[14:15], v[2:3]
	v_mul_f64 v[2:3], v[38:39], v[2:3]
	;; [unrolled: 1-line block ×3, first 2 shown]
	v_fmac_f64_e32 v[2:3], v[112:113], v[0:1]
	scratch_store_dwordx2 off, v[2:3], off offset:464 ; 8-byte Folded Spill
	scratch_load_dwordx2 v[2:3], off, off offset:196 ; 8-byte Folded Reload
	s_nop 0
	scratch_load_dwordx2 v[8:9], off, off offset:388 ; 8-byte Folded Reload
	v_mul_f64 v[0:1], v[114:115], v[122:123]
	v_add_f64 v[92:93], v[76:77], -v[92:93]
	s_waitcnt vmcnt(0)
	v_div_fixup_f64 v[0:1], v[8:9], v[2:3], v[0:1]
	scratch_store_dwordx2 off, v[0:1], off offset:196 ; 8-byte Folded Spill
	scratch_load_dword v1, off, off offset:420 ; 4-byte Folded Reload
	v_add_u32_e32 v0, s3, v50
	s_mul_i32 s3, s2, 3
	s_waitcnt vmcnt(0)
	v_add3_u32 v28, v1, s6, v0
	scratch_load_dword v1, off, off offset:344 ; 4-byte Folded Reload
	v_add_u32_e32 v34, v28, v4
	v_ashrrev_i32_e32 v35, 31, v34
	v_lshl_add_u64 v[34:35], v[34:35], 3, s[12:13]
	s_waitcnt vmcnt(0)
	v_add3_u32 v29, v1, s6, v0
	scratch_load_dword v1, off, off offset:384 ; 4-byte Folded Reload
	v_add_u32_e32 v2, v29, v73
	v_ashrrev_i32_e32 v3, 31, v2
	v_lshl_add_u64 v[2:3], v[2:3], 3, s[12:13]
	v_add_u32_e32 v74, v29, v51
	v_ashrrev_i32_e32 v75, 31, v74
	v_lshl_add_u64 v[74:75], v[74:75], 3, s[12:13]
	;; [unrolled: 3-line block ×3, first 2 shown]
	s_waitcnt vmcnt(0)
	v_add3_u32 v120, v1, s6, v0
	scratch_load_dword v1, off, off offset:352 ; 4-byte Folded Reload
	v_add_u32_e32 v38, v120, v73
	v_ashrrev_i32_e32 v39, 31, v38
	v_lshl_add_u64 v[38:39], v[38:39], 3, s[12:13]
	v_add_u32_e32 v64, v120, v51
	v_ashrrev_i32_e32 v65, 31, v64
	v_lshl_add_u64 v[64:65], v[64:65], 3, s[12:13]
	s_waitcnt vmcnt(0)
	v_add3_u32 v121, v1, s6, v0
	v_add_u32_e32 v0, v28, v73
	v_add_u32_e32 v110, v121, v73
	v_ashrrev_i32_e32 v1, 31, v0
	v_ashrrev_i32_e32 v111, 31, v110
	v_lshl_add_u64 v[0:1], v[0:1], 3, s[12:13]
	v_lshl_add_u64 v[110:111], v[110:111], 3, s[12:13]
	global_load_dwordx2 v[0:1], v[0:1], off
	s_nop 0
	global_load_dwordx2 v[2:3], v[2:3], off
	s_nop 0
	;; [unrolled: 2-line block ×3, first 2 shown]
	global_load_dwordx2 v[110:111], v[110:111], off
	v_add_u32_e32 v8, v121, v51
	v_ashrrev_i32_e32 v9, 31, v8
	v_lshl_add_u64 v[8:9], v[8:9], 3, s[12:13]
	v_add_u32_e32 v32, v121, v72
	v_ashrrev_i32_e32 v33, 31, v32
	v_lshl_add_u64 v[32:33], v[32:33], 3, s[12:13]
	s_waitcnt vmcnt(2)
	v_add_f64 v[112:113], v[0:1], -v[2:3]
	v_mul_f64 v[112:113], v[112:113], s[0:1]
	s_waitcnt vmcnt(0)
	v_add_f64 v[68:69], v[38:39], -v[110:111]
	v_fma_f64 v[68:69], v[68:69], s[4:5], -v[112:113]
	v_add_u32_e32 v112, v28, v51
	v_ashrrev_i32_e32 v113, 31, v112
	v_lshl_add_u64 v[112:113], v[112:113], 3, s[12:13]
	global_load_dwordx2 v[112:113], v[112:113], off
	s_nop 0
	global_load_dwordx2 v[74:75], v[74:75], off
	s_nop 0
	;; [unrolled: 2-line block ×3, first 2 shown]
	global_load_dwordx2 v[8:9], v[8:9], off
	s_waitcnt vmcnt(3)
	v_add_f64 v[0:1], v[0:1], -v[112:113]
	scratch_load_dwordx2 v[16:17], off, off offset:624 ; 8-byte Folded Reload
	s_waitcnt vmcnt(3)
	v_add_f64 v[40:41], v[112:113], -v[74:75]
	v_mul_f64 v[40:41], v[40:41], s[0:1]
	s_waitcnt vmcnt(1)
	v_add_f64 v[52:53], v[64:65], -v[8:9]
	v_fma_f64 v[40:41], v[52:53], s[4:5], -v[40:41]
	v_add_u32_e32 v52, v120, v4
	v_ashrrev_i32_e32 v53, 31, v52
	v_lshl_add_u64 v[52:53], v[52:53], 3, s[12:13]
	v_mul_f64 v[0:1], v[0:1], s[0:1]
	v_add_f64 v[2:3], v[2:3], -v[74:75]
	v_mul_f64 v[2:3], v[2:3], s[0:1]
	s_waitcnt vmcnt(0)
	v_mul_f64 v[40:41], v[16:17], v[40:41]
	v_fma_f64 v[16:17], v[126:127], v[68:69], -v[40:41]
	v_add_u32_e32 v40, v29, v4
	v_add_u32_e32 v4, v121, v4
	v_ashrrev_i32_e32 v41, 31, v40
	v_ashrrev_i32_e32 v5, 31, v4
	scratch_store_dwordx2 off, v[16:17], off offset:344 ; 8-byte Folded Spill
	v_lshl_add_u64 v[40:41], v[40:41], 3, s[12:13]
	v_lshl_add_u64 v[4:5], v[4:5], 3, s[12:13]
	global_load_dwordx2 v[34:35], v[34:35], off
	s_nop 0
	global_load_dwordx2 v[40:41], v[40:41], off
	s_nop 0
	;; [unrolled: 2-line block ×3, first 2 shown]
	global_load_dwordx2 v[4:5], v[4:5], off
	s_waitcnt vmcnt(2)
	v_add_f64 v[68:69], v[34:35], -v[40:41]
	v_mul_f64 v[68:69], v[68:69], s[0:1]
	s_waitcnt vmcnt(0)
	v_add_f64 v[44:45], v[52:53], -v[4:5]
	v_fma_f64 v[44:45], v[44:45], s[4:5], -v[68:69]
	v_add_u32_e32 v68, v28, v72
	v_add_u32_e32 v28, v120, v72
	v_ashrrev_i32_e32 v69, 31, v68
	v_ashrrev_i32_e32 v29, 31, v28
	v_lshl_add_u64 v[68:69], v[68:69], 3, s[12:13]
	v_lshl_add_u64 v[28:29], v[28:29], 3, s[12:13]
	global_load_dwordx2 v[68:69], v[68:69], off
	s_nop 0
	global_load_dwordx2 v[60:61], v[60:61], off
	s_nop 0
	global_load_dwordx2 v[28:29], v[28:29], off
	s_nop 0
	global_load_dwordx2 v[32:33], v[32:33], off
	s_waitcnt vmcnt(3)
	v_add_f64 v[34:35], v[34:35], -v[68:69]
	scratch_load_dwordx2 v[16:17], off, off offset:592 ; 8-byte Folded Reload
	s_waitcnt vmcnt(3)
	v_add_f64 v[126:127], v[68:69], -v[60:61]
	v_mul_f64 v[126:127], v[126:127], s[0:1]
	s_waitcnt vmcnt(1)
	v_add_f64 v[120:121], v[28:29], -v[32:33]
	v_fma_f64 v[120:121], v[120:121], s[4:5], -v[126:127]
	v_fma_f64 v[0:1], v[34:35], s[4:5], -v[0:1]
	v_add_f64 v[34:35], v[40:41], -v[60:61]
	v_fma_f64 v[2:3], v[34:35], s[4:5], -v[2:3]
	v_mul_f64 v[34:35], v[6:7], v[12:13]
	v_mul_f64 v[34:35], v[12:13], v[34:35]
	;; [unrolled: 1-line block ×3, first 2 shown]
	v_mov_b64_e32 v[60:61], v[6:7]
	v_add_f64 v[4:5], v[4:5], -v[32:33]
	s_waitcnt vmcnt(0)
	v_mul_f64 v[120:121], v[16:17], v[120:121]
	scratch_load_dwordx2 v[16:17], off, off offset:600 ; 8-byte Folded Reload
	s_waitcnt vmcnt(0)
	v_fma_f64 v[126:127], v[16:17], v[44:45], -v[120:121]
	scratch_load_dwordx2 v[68:69], off, off offset:568 ; 8-byte Folded Reload
	scratch_load_dwordx2 v[16:17], off, off offset:560 ; 8-byte Folded Reload
	v_mov_b64_e32 v[120:121], v[14:15]
	v_mov_b64_e32 v[118:119], v[12:13]
	s_waitcnt vmcnt(0)
	v_mul_f64 v[34:35], v[16:17], v[68:69]
	v_mul_f64 v[34:35], v[68:69], v[34:35]
	v_fma_f64 v[0:1], v[34:35], v[0:1], -v[2:3]
	scratch_store_dwordx2 off, v[0:1], off offset:352 ; 8-byte Folded Spill
	v_add_f64 v[0:1], v[38:39], -v[64:65]
	v_add_f64 v[2:3], v[52:53], -v[28:29]
	v_mul_f64 v[0:1], v[0:1], s[0:1]
	v_fma_f64 v[0:1], v[2:3], s[4:5], -v[0:1]
	v_add_f64 v[2:3], v[110:111], -v[8:9]
	scratch_load_dwordx2 v[6:7], off, off offset:376 ; 8-byte Folded Reload
	scratch_load_dwordx4 v[110:113], off, off offset:576 ; 16-byte Folded Reload
	v_mul_f64 v[2:3], v[2:3], s[0:1]
	v_fma_f64 v[2:3], v[4:5], s[4:5], -v[2:3]
	v_mul_f64 v[4:5], v[10:11], v[14:15]
	v_mul_f64 v[4:5], v[14:15], v[4:5]
	;; [unrolled: 1-line block ×3, first 2 shown]
	scratch_load_dwordx4 v[12:15], off, off offset:744 ; 16-byte Folded Reload
	v_mov_b64_e32 v[52:53], v[10:11]
	s_waitcnt vmcnt(1)
	v_mul_f64 v[4:5], v[6:7], v[112:113]
	v_mul_f64 v[4:5], v[112:113], v[4:5]
	v_fma_f64 v[110:111], v[4:5], v[0:1], -v[2:3]
	scratch_load_dwordx2 v[0:1], off, off offset:368 ; 8-byte Folded Reload
	global_load_dwordx2 v[4:5], v[18:19], off offset:16
	s_waitcnt vmcnt(2)
	v_add_f64 v[8:9], v[14:15], -v[108:109]
	s_waitcnt vmcnt(1)
	v_mul_f64 v[2:3], v[0:1], v[46:47]
	s_waitcnt vmcnt(0)
	v_add_f64 v[0:1], v[4:5], -v[106:107]
	v_mul_f64 v[0:1], v[0:1], s[0:1]
	v_fma_f64 v[0:1], v[8:9], s[4:5], -v[0:1]
	v_lshl_add_u64 v[8:9], s[18:19], 0, v[36:37]
	global_load_dwordx2 v[38:39], v[8:9], off
	s_nop 0
	scratch_load_dwordx2 v[8:9], off, off offset:704 ; 8-byte Folded Reload
	scratch_load_dwordx4 v[10:13], off, off offset:680 ; 16-byte Folded Reload
	global_load_dwordx2 v[28:29], v[26:27], off offset:16
	v_mul_f64 v[2:3], v[112:113], v[2:3]
	s_waitcnt vmcnt(2)
	v_mul_f64 v[8:9], v[8:9], v[38:39]
	v_mul_f64 v[8:9], v[8:9], v[0:1]
	s_waitcnt vmcnt(1)
	v_add_f64 v[10:11], v[14:15], -v[12:13]
	v_add_f64 v[0:1], v[12:13], -v[104:105]
	scratch_load_dwordx2 v[12:13], off, off offset:672 ; 8-byte Folded Reload
	s_waitcnt vmcnt(1)
	v_add_f64 v[26:27], v[28:29], -v[102:103]
	v_mul_f64 v[26:27], v[26:27], s[0:1]
	v_fma_f64 v[0:1], v[0:1], s[4:5], -v[26:27]
	v_mul_f64 v[10:11], v[10:11], s[0:1]
	v_add_f64 v[4:5], v[4:5], -v[28:29]
	v_mul_f64 v[4:5], v[4:5], s[0:1]
	s_waitcnt vmcnt(0)
	v_lshl_add_u64 v[26:27], s[18:19], 0, v[12:13]
	global_load_dwordx2 v[102:103], v[26:27], off
	scratch_load_dwordx2 v[12:13], off, off offset:608 ; 8-byte Folded Reload
	global_load_dwordx2 v[18:19], v[58:59], off offset:16
	scratch_load_dwordx4 v[34:37], off, off offset:712 ; 16-byte Folded Reload
	s_waitcnt vmcnt(2)
	v_mul_f64 v[26:27], v[12:13], v[102:103]
	scratch_load_dwordx2 v[12:13], off, off offset:696 ; 8-byte Folded Reload
	v_mul_f64 v[32:33], v[26:27], v[0:1]
	s_waitcnt vmcnt(2)
	v_add_f64 v[0:1], v[18:19], -v[98:99]
	s_waitcnt vmcnt(1)
	v_add_f64 v[26:27], v[36:37], -v[100:101]
	v_mul_f64 v[0:1], v[0:1], s[0:1]
	v_fma_f64 v[0:1], v[26:27], s[4:5], -v[0:1]
	v_mul_f64 v[72:73], v[114:115], v[32:33]
	s_waitcnt vmcnt(0)
	v_lshl_add_u64 v[26:27], s[18:19], 0, v[12:13]
	global_load_dwordx2 v[26:27], v[26:27], off
	s_nop 0
	scratch_load_dwordx2 v[12:13], off, off offset:640 ; 8-byte Folded Reload
	global_load_dwordx2 v[40:41], v[20:21], off offset:16
	s_waitcnt vmcnt(1)
	v_mul_f64 v[34:35], v[12:13], v[26:27]
	scratch_load_dwordx4 v[12:15], off, off offset:656 ; 16-byte Folded Reload
	s_waitcnt vmcnt(1)
	v_add_f64 v[44:45], v[40:41], -v[94:95]
	v_mul_f64 v[34:35], v[34:35], v[0:1]
	v_mul_f64 v[44:45], v[44:45], s[0:1]
	;; [unrolled: 1-line block ×4, first 2 shown]
	s_waitcnt vmcnt(0)
	v_mov_b64_e32 v[12:13], v[14:15]
	v_add_f64 v[0:1], v[12:13], -v[96:97]
	v_fma_f64 v[44:45], v[0:1], s[4:5], -v[44:45]
	scratch_load_dwordx2 v[0:1], off, off offset:648 ; 8-byte Folded Reload
	v_add_f64 v[36:37], v[36:37], -v[12:13]
	v_fma_f64 v[10:11], v[36:37], s[4:5], -v[10:11]
	v_add_f64 v[36:37], v[76:77], -v[66:67]
	v_mul_f64 v[2:3], v[10:11], v[2:3]
	v_mul_f64 v[10:11], v[6:7], v[42:43]
	;; [unrolled: 1-line block ×4, first 2 shown]
	v_mov_b64_e32 v[96:97], v[6:7]
	v_add_f64 v[76:77], v[66:67], -v[84:85]
	v_add_f64 v[66:67], v[70:71], -v[88:89]
	s_waitcnt vmcnt(0)
	v_lshl_add_u64 v[0:1], s[18:19], 0, v[0:1]
	global_load_dwordx2 v[0:1], v[0:1], off
	s_nop 0
	scratch_load_dwordx2 v[12:13], off, off offset:632 ; 8-byte Folded Reload
	global_load_dwordx2 v[6:7], v[30:31], off offset:16
	global_load_dwordx2 v[8:9], v[54:55], off offset:16
	s_waitcnt vmcnt(2)
	v_mul_f64 v[46:47], v[12:13], v[0:1]
	scratch_load_dwordx4 v[12:15], off, off offset:728 ; 16-byte Folded Reload
	v_mul_f64 v[44:45], v[46:47], v[44:45]
	v_mul_f64 v[46:47], v[114:115], v[44:45]
	s_waitcnt vmcnt(0)
	v_mov_b64_e32 v[12:13], v[14:15]
	v_add_f64 v[42:43], v[70:71], -v[12:13]
	v_fma_f64 v[36:37], v[42:43], s[4:5], -v[36:37]
	v_mul_f64 v[10:11], v[36:37], v[10:11]
	v_mul_f64 v[42:43], v[122:123], v[10:11]
	v_fmac_f64_e32 v[42:43], v[116:117], v[2:3]
	v_add_f64 v[80:81], v[12:13], -v[80:81]
	global_load_dwordx2 v[12:13], v[62:63], off offset:16
	global_load_dwordx2 v[10:11], v[24:25], off offset:16
	;; [unrolled: 1-line block ×3, first 2 shown]
	scratch_load_dwordx2 v[14:15], off, off offset:552 ; 8-byte Folded Reload
	v_add_f64 v[90:91], v[6:7], -v[90:91]
	scratch_load_dwordx2 v[20:21], off, off offset:616 ; 8-byte Folded Reload
	v_add_f64 v[82:83], v[8:9], -v[82:83]
	s_waitcnt vmcnt(4)
	v_add_f64 v[58:59], v[12:13], -v[78:79]
	v_mov_b64_e32 v[78:79], v[16:17]
	s_waitcnt vmcnt(1)
	v_mul_f64 v[2:3], v[14:15], v[2:3]
	v_add_f64 v[14:15], v[18:19], -v[40:41]
	v_fma_f64 v[4:5], v[14:15], s[4:5], -v[4:5]
	v_mul_f64 v[2:3], v[68:69], v[2:3]
	v_mul_f64 v[2:3], v[4:5], v[2:3]
	v_add_f64 v[4:5], v[6:7], -v[8:9]
	v_add_f64 v[6:7], v[10:11], -v[12:13]
	v_mul_f64 v[4:5], v[4:5], s[0:1]
	v_fma_f64 v[4:5], v[6:7], s[4:5], -v[4:5]
	global_load_dwordx2 v[6:7], v[48:49], off offset:16
	v_add_f64 v[70:71], v[10:11], -v[86:87]
	s_waitcnt vmcnt(0)
	v_mul_f64 v[6:7], v[78:79], v[6:7]
	v_mul_f64 v[6:7], v[68:69], v[6:7]
	v_mul_f64 v[4:5], v[4:5], v[6:7]
	v_mul_f64 v[16:17], v[122:123], v[4:5]
	scratch_load_dwordx2 v[4:5], off, off offset:328 ; 8-byte Folded Reload
	s_waitcnt vmcnt(0)
	v_fmac_f64_e32 v[16:17], v[4:5], v[2:3]
	global_load_dwordx4 v[8:11], v[20:21], off offset:-16
	scratch_load_dwordx4 v[2:5], off, off offset:536 ; 16-byte Folded Reload
	scratch_load_dwordx2 v[18:19], off, off offset:528 ; 8-byte Folded Reload
	scratch_load_dwordx2 v[30:31], off, off offset:488 ; 8-byte Folded Reload
	global_load_dwordx2 v[22:23], v[20:21], off offset:16
	s_waitcnt vmcnt(3)
	v_mov_b64_e32 v[12:13], v[4:5]
	scratch_load_dwordx4 v[2:5], off, off offset:512 ; 16-byte Folded Reload
	v_add_f64 v[6:7], v[12:13], -v[10:11]
	s_waitcnt vmcnt(3)
	global_load_dwordx2 v[34:35], v[18:19], off offset:16
	s_waitcnt vmcnt(2)
	v_add_f64 v[36:37], v[22:23], -v[8:9]
	s_waitcnt vmcnt(1)
	v_mov_b64_e32 v[2:3], v[4:5]
	v_add_f64 v[40:41], v[12:13], -v[2:3]
	global_load_dwordx4 v[12:15], v[18:19], off offset:-16
	s_waitcnt vmcnt(0)
	v_add_f64 v[4:5], v[2:3], -v[14:15]
	v_add_f64 v[28:29], v[8:9], -v[12:13]
	;; [unrolled: 1-line block ×4, first 2 shown]
	global_load_dwordx4 v[8:11], v[30:31], off offset:-16
	scratch_load_dwordx4 v[12:15], off, off offset:496 ; 16-byte Folded Reload
	scratch_load_dwordx2 v[84:85], off, off offset:360 ; 8-byte Folded Reload
	global_load_dwordx2 v[44:45], v[30:31], off offset:16
	s_waitcnt vmcnt(2)
	v_mov_b64_e32 v[18:19], v[14:15]
	scratch_load_dwordx4 v[12:15], off, off offset:432 ; 16-byte Folded Reload
	v_add_f64 v[2:3], v[18:19], -v[10:11]
	s_waitcnt vmcnt(0)
	v_mov_b64_e32 v[12:13], v[14:15]
	scratch_load_dwordx2 v[14:15], off, off offset:456 ; 8-byte Folded Reload
	v_add_f64 v[62:63], v[18:19], -v[12:13]
	s_waitcnt vmcnt(0)
	global_load_dwordx4 v[18:21], v[14:15], off offset:-16
	s_waitcnt vmcnt(0)
	v_add_f64 v[64:65], v[10:11], -v[20:21]
	global_load_dwordx2 v[10:11], v[14:15], off offset:16
	v_add_f64 v[74:75], v[12:13], -v[20:21]
	v_add_f64 v[12:13], v[44:45], -v[8:9]
	;; [unrolled: 1-line block ×4, first 2 shown]
	v_mul_f64 v[20:21], v[20:21], s[0:1]
	s_waitcnt vmcnt(0)
	v_add_f64 v[14:15], v[10:11], -v[18:19]
	global_load_dwordx2 v[18:19], v[84:85], off offset:16
	v_add_f64 v[10:11], v[44:45], -v[10:11]
	v_fma_f64 v[10:11], v[10:11], s[4:5], -v[20:21]
	global_load_dwordx4 v[20:23], v[84:85], off offset:-16
	v_mul_f64 v[14:15], v[14:15], s[0:1]
	s_waitcnt vmcnt(1)
	v_mul_f64 v[18:19], v[78:79], v[18:19]
	v_mul_f64 v[18:19], v[68:69], v[18:19]
	v_fmac_f64_e32 v[16:17], v[10:11], v[18:19]
	v_mul_f64 v[10:11], v[28:29], s[0:1]
	v_fma_f64 v[68:69], v[8:9], s[4:5], -v[10:11]
	s_waitcnt vmcnt(0)
	v_mul_f64 v[8:9], v[60:61], v[20:21]
	scratch_load_dwordx2 v[60:61], off, off offset:448 ; 8-byte Folded Reload
	v_mul_f64 v[8:9], v[118:119], v[8:9]
	s_waitcnt vmcnt(0)
	v_fmac_f64_e32 v[60:61], v[68:69], v[8:9]
	scratch_load_dwordx4 v[8:11], off, off offset:312 ; 16-byte Folded Reload
	v_add_f64 v[16:17], v[16:17], -v[60:61]
	v_mul_f64 v[16:17], v[16:17], s[0:1]
	s_waitcnt vmcnt(0)
	v_mul_f64 v[8:9], v[96:97], v[10:11]
	v_mul_f64 v[10:11], v[40:41], s[0:1]
	v_fma_f64 v[10:11], v[62:63], s[4:5], -v[10:11]
	scratch_load_dwordx2 v[62:63], off, off offset:464 ; 8-byte Folded Reload
	v_mul_f64 v[8:9], v[112:113], v[8:9]
	v_fmac_f64_e32 v[42:43], v[10:11], v[8:9]
	v_mul_f64 v[8:9], v[52:53], v[22:23]
	v_mul_f64 v[10:11], v[24:25], s[0:1]
	;; [unrolled: 1-line block ×3, first 2 shown]
	v_fma_f64 v[10:11], v[64:65], s[4:5], -v[10:11]
	s_waitcnt vmcnt(0)
	v_fmac_f64_e32 v[62:63], v[10:11], v[8:9]
	scratch_load_dwordx2 v[10:11], off, off offset:404 ; 8-byte Folded Reload
	scratch_load_dwordx2 v[8:9], off, off offset:396 ; 8-byte Folded Reload
	s_waitcnt vmcnt(0)
	v_fmac_f64_e32 v[10:11], v[56:57], v[8:9]
	scratch_load_dwordx2 v[8:9], off, off offset:344 ; 8-byte Folded Reload
	s_waitcnt vmcnt(0)
	v_mul_f64 v[8:9], v[8:9], s[0:1]
	v_fma_f64 v[8:9], v[126:127], s[4:5], -v[8:9]
	v_add_f64 v[8:9], v[10:11], v[8:9]
	scratch_load_dwordx2 v[10:11], off, off offset:352 ; 8-byte Folded Reload
	s_waitcnt vmcnt(0)
	v_mul_f64 v[10:11], v[10:11], s[0:1]
	v_fma_f64 v[10:11], v[110:111], s[4:5], -v[10:11]
	v_add_f64 v[34:35], v[10:11], v[8:9]
	scratch_load_dwordx2 v[18:19], off, off offset:280 ; 8-byte Folded Reload
	scratch_load_dwordx2 v[10:11], off, off offset:304 ; 8-byte Folded Reload
	v_mul_f64 v[8:9], v[90:91], s[0:1]
	v_fma_f64 v[8:9], v[92:93], s[4:5], -v[8:9]
	s_waitcnt vmcnt(0)
	v_mul_f64 v[10:11], v[18:19], v[10:11]
	v_mul_f64 v[22:23], v[10:11], v[38:39]
	scratch_load_dwordx2 v[10:11], off, off offset:336 ; 8-byte Folded Reload
	v_mul_f64 v[8:9], v[22:23], v[8:9]
	v_fmac_f64_e32 v[8:9], v[56:57], v[94:95]
	s_waitcnt vmcnt(0)
	v_mul_f64 v[10:11], v[18:19], v[10:11]
	v_mul_f64 v[18:19], v[36:37], s[0:1]
	v_fma_f64 v[6:7], v[6:7], s[4:5], -v[18:19]
	v_mul_f64 v[10:11], v[10:11], v[38:39]
	v_mul_f64 v[6:7], v[10:11], v[6:7]
	v_fmac_f64_e32 v[8:9], v[56:57], v[6:7]
	v_mul_f64 v[6:7], v[82:83], s[0:1]
	v_fma_f64 v[10:11], v[76:77], s[4:5], -v[6:7]
	scratch_load_dwordx2 v[18:19], off, off offset:256 ; 8-byte Folded Reload
	scratch_load_dwordx2 v[6:7], off, off offset:264 ; 8-byte Folded Reload
	;; [unrolled: 1-line block ×3, first 2 shown]
	s_waitcnt vmcnt(1)
	v_mul_f64 v[6:7], v[18:19], v[6:7]
	v_mul_f64 v[6:7], v[6:7], v[102:103]
	s_waitcnt vmcnt(0)
	v_mul_f64 v[18:19], v[18:19], v[20:21]
	v_mul_f64 v[20:21], v[32:33], s[0:1]
	;; [unrolled: 1-line block ×3, first 2 shown]
	v_fma_f64 v[4:5], v[4:5], s[4:5], -v[20:21]
	v_mul_f64 v[18:19], v[18:19], v[102:103]
	v_fmac_f64_e32 v[10:11], v[56:57], v[72:73]
	v_mul_f64 v[4:5], v[18:19], v[4:5]
	v_fmac_f64_e32 v[10:11], v[56:57], v[4:5]
	v_mul_f64 v[4:5], v[70:71], s[0:1]
	v_add_f64 v[36:37], v[8:9], -v[10:11]
	v_fma_f64 v[8:9], v[66:67], s[4:5], -v[4:5]
	scratch_load_dwordx2 v[10:11], off, off offset:248 ; 8-byte Folded Reload
	scratch_load_dwordx2 v[4:5], off, off offset:272 ; 8-byte Folded Reload
	s_waitcnt vmcnt(0)
	v_mul_f64 v[4:5], v[10:11], v[4:5]
	v_mul_f64 v[4:5], v[4:5], v[26:27]
	;; [unrolled: 1-line block ×3, first 2 shown]
	scratch_load_dwordx2 v[8:9], off, off offset:296 ; 8-byte Folded Reload
	v_fmac_f64_e32 v[40:41], v[56:57], v[50:51]
	s_waitcnt vmcnt(0)
	v_mul_f64 v[8:9], v[10:11], v[8:9]
	v_mul_f64 v[10:11], v[12:13], s[0:1]
	v_fma_f64 v[2:3], v[2:3], s[4:5], -v[10:11]
	v_mul_f64 v[8:9], v[8:9], v[26:27]
	v_mul_f64 v[2:3], v[8:9], v[2:3]
	v_fmac_f64_e32 v[40:41], v[56:57], v[2:3]
	v_mul_f64 v[2:3], v[58:59], s[0:1]
	v_fma_f64 v[8:9], v[80:81], s[4:5], -v[2:3]
	scratch_load_dwordx2 v[30:31], off, off offset:232 ; 8-byte Folded Reload
	scratch_load_dwordx2 v[2:3], off, off offset:240 ; 8-byte Folded Reload
	scratch_load_dword v10, off, off offset:208 ; 4-byte Folded Reload
	scratch_load_dword v66, off, off offset:228 ; 4-byte Folded Reload
	s_waitcnt vmcnt(2)
	v_mul_f64 v[2:3], v[30:31], v[2:3]
	s_waitcnt vmcnt(0)
	v_add3_u32 v18, v10, v66, s2
	v_mul_f64 v[2:3], v[2:3], v[0:1]
	v_ashrrev_i32_e32 v19, 31, v18
	v_mul_f64 v[48:49], v[2:3], v[8:9]
	v_lshl_add_u64 v[8:9], v[18:19], 3, s[12:13]
	global_load_dwordx2 v[32:33], v[8:9], off
	scratch_load_dword v69, off, off offset:212 ; 4-byte Folded Reload
	v_mov_b32_e32 v12, v10
	v_fmac_f64_e32 v[48:49], v[56:57], v[46:47]
	s_waitcnt vmcnt(0)
	v_add3_u32 v20, v10, v69, s2
	v_ashrrev_i32_e32 v21, 31, v20
	v_lshl_add_u64 v[8:9], v[20:21], 3, s[12:13]
	global_load_dwordx2 v[10:11], v[8:9], off
	scratch_load_dword v58, off, off offset:216 ; 4-byte Folded Reload
	s_waitcnt vmcnt(0)
	v_add3_u32 v24, v12, v58, s2
	v_ashrrev_i32_e32 v25, 31, v24
	v_lshl_add_u64 v[8:9], v[24:25], 3, s[12:13]
	global_load_dwordx2 v[8:9], v[8:9], off
	s_nop 0
	scratch_load_dword v71, off, off offset:204 ; 4-byte Folded Reload
	s_waitcnt vmcnt(0)
	v_add3_u32 v28, v12, v71, s2
	v_ashrrev_i32_e32 v29, 31, v28
	v_lshl_add_u64 v[12:13], v[28:29], 3, s[12:13]
	global_load_dwordx2 v[12:13], v[12:13], off
	s_nop 0
	scratch_load_dwordx2 v[44:45], off, off offset:220 ; 8-byte Folded Reload
	s_waitcnt vmcnt(0)
	v_mul_f64 v[52:53], v[30:31], v[44:45]
	v_fma_f64 v[30:31], v[74:75], s[4:5], -v[14:15]
	scratch_load_dword v14, off, off offset:192 ; 4-byte Folded Reload
	v_mov_b32_e32 v74, v58
	s_waitcnt vmcnt(0)
	v_add_u32_e32 v14, s3, v14
	v_ashrrev_i32_e32 v15, 31, v14
	v_lshl_add_u64 v[44:45], v[14:15], 3, s[18:19]
	v_subrev_u32_e32 v14, s2, v14
	v_ashrrev_i32_e32 v15, 31, v14
	v_lshl_add_u64 v[14:15], v[14:15], 3, s[18:19]
	global_load_dwordx2 v[54:55], v[44:45], off
	global_load_dwordx2 v[46:47], v[14:15], off
	v_add_u32_e32 v14, s2, v18
	v_ashrrev_i32_e32 v15, 31, v14
	v_lshl_add_u64 v[14:15], v[14:15], 3, s[12:13]
	global_load_dwordx2 v[50:51], v[14:15], off
	v_add_u32_e32 v14, s2, v20
	v_ashrrev_i32_e32 v15, 31, v14
	v_lshl_add_u64 v[14:15], v[14:15], 3, s[12:13]
	global_load_dwordx2 v[20:21], v[14:15], off
	v_add_u32_e32 v14, s2, v24
	v_mul_f64 v[24:25], v[52:53], v[0:1]
	v_ashrrev_i32_e32 v15, 31, v14
	v_mul_f64 v[24:25], v[24:25], v[30:31]
	v_lshl_add_u64 v[14:15], v[14:15], 3, s[12:13]
	v_fmac_f64_e32 v[48:49], v[56:57], v[24:25]
	global_load_dwordx2 v[18:19], v[14:15], off
	v_add_u32_e32 v14, s2, v28
	v_add_f64 v[24:25], v[40:41], -v[48:49]
	v_mul_f64 v[28:29], v[36:37], s[0:1]
	v_fma_f64 v[24:25], v[24:25], s[4:5], -v[28:29]
	v_add_f64 v[30:31], v[34:35], v[24:25]
	scratch_load_dword v34, off, off offset:56 ; 4-byte Folded Reload
	v_add_f64 v[24:25], v[42:43], -v[62:63]
	v_fma_f64 v[16:17], v[24:25], s[4:5], -v[16:17]
	v_fmac_f64_e32 v[30:31], v[56:57], v[16:17]
	v_add_f64 v[40:41], v[32:33], -v[10:11]
	v_ashrrev_i32_e32 v15, 31, v14
	v_mul_f64 v[40:41], v[40:41], s[0:1]
	v_add_f64 v[42:43], v[8:9], -v[12:13]
	v_lshl_add_u64 v[14:15], v[14:15], 3, s[12:13]
	v_fma_f64 v[48:49], v[42:43], s[4:5], -v[40:41]
	global_load_dwordx2 v[14:15], v[14:15], off
	s_waitcnt vmcnt(1)
	v_add3_u32 v24, v34, v66, s2
	v_ashrrev_i32_e32 v25, 31, v24
	v_lshl_add_u64 v[16:17], v[24:25], 3, s[12:13]
	v_mov_b32_e32 v25, v34
	v_add3_u32 v44, v25, v71, s2
	scratch_load_dword v25, off, off offset:52 ; 4-byte Folded Reload
	v_add3_u32 v28, v34, v69, s2
	v_ashrrev_i32_e32 v29, 31, v28
	v_add3_u32 v36, v34, v58, s2
	global_load_dwordx2 v[64:65], v[16:17], off
	v_lshl_add_u64 v[16:17], v[28:29], 3, s[12:13]
	v_ashrrev_i32_e32 v37, 31, v36
	v_add_u32_e32 v24, s2, v24
	global_load_dwordx2 v[52:53], v[16:17], off
	v_lshl_add_u64 v[16:17], v[36:37], 3, s[12:13]
	v_ashrrev_i32_e32 v45, 31, v44
	global_load_dwordx2 v[34:35], v[16:17], off
	v_lshl_add_u64 v[16:17], v[44:45], 3, s[12:13]
	global_load_dwordx2 v[16:17], v[16:17], off
	s_waitcnt vmcnt(4)
	v_add_u32_e32 v40, s3, v25
	v_ashrrev_i32_e32 v41, 31, v40
	v_lshl_add_u64 v[42:43], v[40:41], 3, s[18:19]
	v_subrev_u32_e32 v40, s2, v40
	v_ashrrev_i32_e32 v25, 31, v24
	v_ashrrev_i32_e32 v41, 31, v40
	v_lshl_add_u64 v[24:25], v[24:25], 3, s[12:13]
	v_lshl_add_u64 v[40:41], v[40:41], 3, s[18:19]
	global_load_dwordx2 v[58:59], v[42:43], off
	global_load_dwordx2 v[60:61], v[40:41], off
	;; [unrolled: 1-line block ×3, first 2 shown]
	v_add_u32_e32 v24, s2, v28
	v_ashrrev_i32_e32 v25, 31, v24
	v_lshl_add_u64 v[24:25], v[24:25], 3, s[12:13]
	global_load_dwordx2 v[42:43], v[24:25], off
	v_add_u32_e32 v24, s2, v36
	v_ashrrev_i32_e32 v25, 31, v24
	v_lshl_add_u64 v[24:25], v[24:25], 3, s[12:13]
	global_load_dwordx2 v[40:41], v[24:25], off
	;; [unrolled: 4-line block ×3, first 2 shown]
	scratch_load_dwordx2 v[56:57], off, off offset:152 ; 8-byte Folded Reload
	scratch_load_dwordx2 v[62:63], off, off offset:160 ; 8-byte Folded Reload
	scratch_load_dword v70, off, off offset:140 ; 4-byte Folded Reload
	scratch_load_dwordx2 v[44:45], off, off offset:144 ; 8-byte Folded Reload
	s_waitcnt vmcnt(13)
	v_add_f64 v[32:33], v[32:33], -v[64:65]
	v_mul_f64 v[32:33], v[32:33], s[0:1]
	s_waitcnt vmcnt(12)
	v_add_f64 v[10:11], v[10:11], -v[52:53]
	v_mul_f64 v[10:11], v[10:11], s[0:1]
	;; [unrolled: 3-line block ×3, first 2 shown]
	s_waitcnt vmcnt(3)
	v_mul_f64 v[24:25], v[56:57], v[54:55]
	s_waitcnt vmcnt(2)
	v_mul_f64 v[24:25], v[62:63], v[24:25]
	v_mul_f64 v[24:25], v[48:49], v[24:25]
	v_mov_b32_e32 v48, v66
	s_waitcnt vmcnt(1)
	v_add3_u32 v28, v70, v48, s2
	v_ashrrev_i32_e32 v29, 31, v28
	s_waitcnt vmcnt(0)
	v_mul_f64 v[24:25], v[44:45], v[24:25]
	v_lshl_add_u64 v[44:45], v[28:29], 3, s[12:13]
	global_load_dwordx2 v[44:45], v[44:45], off
	s_nop 0
	scratch_load_dword v68, off, off offset:48 ; 4-byte Folded Reload
	v_mul_f64 v[46:47], v[56:57], v[46:47]
	v_mul_f64 v[62:63], v[62:63], v[46:47]
	v_add_f64 v[46:47], v[50:51], -v[20:21]
	v_mul_f64 v[46:47], v[46:47], s[0:1]
	v_add_u32_e32 v28, s2, v28
	v_ashrrev_i32_e32 v29, 31, v28
	v_lshl_add_u64 v[28:29], v[28:29], 3, s[12:13]
	v_add_f64 v[20:21], v[20:21], -v[42:43]
	v_mul_f64 v[20:21], v[20:21], s[0:1]
	s_waitcnt vmcnt(0)
	v_add3_u32 v54, v68, v48, s2
	v_ashrrev_i32_e32 v55, 31, v54
	v_add_f64 v[48:49], v[18:19], -v[14:15]
	v_fma_f64 v[66:67], v[48:49], s[4:5], -v[46:47]
	v_lshl_add_u64 v[46:47], v[54:55], 3, s[12:13]
	global_load_dwordx2 v[48:49], v[46:47], off
	v_add_u32_e32 v46, s2, v54
	v_ashrrev_i32_e32 v47, 31, v46
	v_lshl_add_u64 v[46:47], v[46:47], 3, s[12:13]
	global_load_dwordx2 v[54:55], v[28:29], off
	s_nop 0
	global_load_dwordx2 v[46:47], v[46:47], off
	s_nop 0
	scratch_load_dwordx2 v[86:87], off, off offset:184 ; 8-byte Folded Reload
	scratch_load_dwordx4 v[82:85], off, off offset:92 ; 16-byte Folded Reload
	v_add_f64 v[28:29], v[34:35], -v[16:17]
	s_waitcnt vmcnt(1)
	v_mul_f64 v[56:57], v[86:87], v[24:25]
	v_fmac_f64_e32 v[56:57], v[66:67], v[62:63]
	scratch_load_dwordx2 v[62:63], off, off offset:68 ; 8-byte Folded Reload
	scratch_load_dwordx2 v[66:67], off, off offset:60 ; 8-byte Folded Reload
	v_add_f64 v[24:25], v[64:65], -v[52:53]
	v_mul_f64 v[24:25], v[24:25], s[0:1]
	v_fma_f64 v[24:25], v[28:29], s[4:5], -v[24:25]
	v_add3_u32 v28, v70, v69, s2
	v_ashrrev_i32_e32 v29, 31, v28
	v_add_f64 v[64:65], v[44:45], -v[48:49]
	v_fma_f64 v[32:33], v[64:65], s[4:5], -v[32:33]
	v_mul_f64 v[78:79], v[22:23], v[32:33]
	s_waitcnt vmcnt(1)
	v_mul_f64 v[58:59], v[62:63], v[58:59]
	s_waitcnt vmcnt(0)
	v_mul_f64 v[58:59], v[66:67], v[58:59]
	v_mul_f64 v[24:25], v[24:25], v[58:59]
	;; [unrolled: 1-line block ×3, first 2 shown]
	v_add_f64 v[62:63], v[72:73], -v[42:43]
	v_mul_f64 v[60:61], v[66:67], v[60:61]
	v_mul_f64 v[62:63], v[62:63], s[0:1]
	v_add_f64 v[66:67], v[40:41], -v[36:37]
	v_mul_f64 v[24:25], v[82:83], v[24:25]
	v_fma_f64 v[66:67], v[66:67], s[4:5], -v[62:63]
	v_mul_f64 v[62:63], v[86:87], v[24:25]
	v_lshl_add_u64 v[58:59], v[28:29], 3, s[12:13]
	v_mov_b32_e32 v29, v68
	v_fmac_f64_e32 v[62:63], v[66:67], v[60:61]
	v_mov_b32_e32 v66, v74
	v_add3_u32 v68, v29, v69, s2
	v_add3_u32 v74, v29, v66, s2
	v_ashrrev_i32_e32 v69, 31, v68
	v_ashrrev_i32_e32 v75, 31, v74
	v_lshl_add_u64 v[24:25], v[68:69], 3, s[12:13]
	v_lshl_add_u64 v[22:23], v[74:75], 3, s[12:13]
	global_load_dwordx2 v[58:59], v[58:59], off
	v_add_u32_e32 v28, s2, v28
	global_load_dwordx2 v[60:61], v[24:25], off
	v_add_u32_e32 v32, s2, v68
	global_load_dwordx2 v[22:23], v[22:23], off
	v_add3_u32 v24, v70, v66, s2
	v_ashrrev_i32_e32 v25, 31, v24
	v_lshl_add_u64 v[64:65], v[24:25], 3, s[12:13]
	v_mov_b32_e32 v25, v29
	v_ashrrev_i32_e32 v29, 31, v28
	v_ashrrev_i32_e32 v33, 31, v32
	v_lshl_add_u64 v[28:29], v[28:29], 3, s[12:13]
	v_lshl_add_u64 v[32:33], v[32:33], 3, s[12:13]
	global_load_dwordx2 v[64:65], v[64:65], off
	s_nop 0
	global_load_dwordx2 v[66:67], v[28:29], off
	s_nop 0
	;; [unrolled: 2-line block ×3, first 2 shown]
	scratch_load_dwordx2 v[28:29], off, off offset:168 ; 8-byte Folded Reload
	scratch_load_dwordx2 v[68:69], off, off offset:176 ; 8-byte Folded Reload
	v_add_u32_e32 v24, s2, v24
	s_waitcnt vmcnt(2)
	v_add_f64 v[42:43], v[66:67], -v[32:33]
	v_fma_f64 v[20:21], v[42:43], s[4:5], -v[20:21]
	s_waitcnt vmcnt(0)
	v_mul_f64 v[28:29], v[28:29], v[68:69]
	v_mov_b32_e32 v68, v71
	v_add3_u32 v76, v70, v68, s2
	v_ashrrev_i32_e32 v77, 31, v76
	v_mul_f64 v[28:29], v[28:29], v[38:39]
	v_lshl_add_u64 v[38:39], v[76:77], 3, s[12:13]
	global_load_dwordx2 v[70:71], v[38:39], off
	v_add_u32_e32 v38, s2, v74
	v_add3_u32 v80, v25, v68, s2
	v_ashrrev_i32_e32 v25, 31, v24
	v_ashrrev_i32_e32 v39, 31, v38
	v_lshl_add_u64 v[24:25], v[24:25], 3, s[12:13]
	v_lshl_add_u64 v[38:39], v[38:39], 3, s[12:13]
	global_load_dwordx2 v[68:69], v[24:25], off
	s_nop 0
	global_load_dwordx2 v[38:39], v[38:39], off
	v_add_f64 v[24:25], v[50:51], -v[72:73]
	v_add_u32_e32 v72, s2, v76
	v_add_u32_e32 v74, s2, v80
	v_ashrrev_i32_e32 v81, 31, v80
	v_mul_f64 v[24:25], v[24:25], s[0:1]
	v_add_f64 v[50:51], v[54:55], -v[46:47]
	v_ashrrev_i32_e32 v73, 31, v72
	v_ashrrev_i32_e32 v75, 31, v74
	v_fma_f64 v[24:25], v[50:51], s[4:5], -v[24:25]
	v_lshl_add_u64 v[50:51], v[80:81], 3, s[12:13]
	v_lshl_add_u64 v[72:73], v[72:73], 3, s[12:13]
	;; [unrolled: 1-line block ×3, first 2 shown]
	global_load_dwordx2 v[50:51], v[50:51], off
	s_nop 0
	global_load_dwordx2 v[74:75], v[72:73], off
	s_nop 0
	global_load_dwordx2 v[72:73], v[76:77], off
	v_mul_f64 v[76:77], v[28:29], v[24:25]
	scratch_load_dword v28, off, off offset:44 ; 4-byte Folded Reload
	v_mul_f64 v[24:25], v[122:123], v[78:79]
	v_fmac_f64_e32 v[76:77], v[86:87], v[24:25]
	s_waitcnt vmcnt(0)
	v_add_u32_e32 v28, s3, v28
	v_ashrrev_i32_e32 v29, 31, v28
	v_lshl_add_u64 v[78:79], v[28:29], 3, s[18:19]
	v_subrev_u32_e32 v24, s2, v28
	v_add_f64 v[28:29], v[58:59], -v[60:61]
	v_fma_f64 v[10:11], v[28:29], s[4:5], -v[10:11]
	scratch_load_dword v28, off, off offset:8 ; 4-byte Folded Reload
	v_ashrrev_i32_e32 v25, 31, v24
	v_lshl_add_u64 v[24:25], v[24:25], 3, s[18:19]
	global_load_dwordx2 v[78:79], v[78:79], off
	v_mul_f64 v[6:7], v[6:7], v[10:11]
	global_load_dwordx2 v[24:25], v[24:25], off
	v_mul_f64 v[6:7], v[122:123], v[6:7]
	s_waitcnt vmcnt(2)
	v_add_u32_e32 v28, s3, v28
	v_ashrrev_i32_e32 v29, 31, v28
	v_lshl_add_u64 v[52:53], v[28:29], 3, s[18:19]
	v_subrev_u32_e32 v28, s2, v28
	v_ashrrev_i32_e32 v29, 31, v28
	v_lshl_add_u64 v[28:29], v[28:29], 3, s[18:19]
	global_load_dwordx2 v[52:53], v[52:53], off
	s_nop 0
	global_load_dwordx2 v[28:29], v[28:29], off
	s_nop 0
	scratch_load_dwordx2 v[10:11], off, off offset:124 ; 8-byte Folded Reload
	scratch_load_dwordx2 v[80:81], off, off offset:132 ; 8-byte Folded Reload
	s_waitcnt vmcnt(0)
	v_mul_f64 v[10:11], v[10:11], v[80:81]
	scratch_load_dwordx2 v[80:81], off, off ; 8-byte Folded Reload
	v_mul_f64 v[10:11], v[10:11], v[102:103]
	v_mul_f64 v[10:11], v[10:11], v[20:21]
	v_mov_b64_e32 v[20:21], v[86:87]
	v_fmac_f64_e32 v[10:11], v[20:21], v[6:7]
	v_add_f64 v[6:7], v[76:77], -v[10:11]
	v_add_f64 v[10:11], v[64:65], -v[22:23]
	v_fma_f64 v[8:9], v[10:11], s[4:5], -v[8:9]
	v_mul_f64 v[4:5], v[4:5], v[8:9]
	v_mul_f64 v[4:5], v[122:123], v[4:5]
	s_waitcnt vmcnt(0)
	v_lshl_add_u64 v[80:81], s[22:23], 0, v[80:81]
	global_load_dwordx2 v[82:83], v[80:81], off
	scratch_load_dwordx2 v[8:9], off, off offset:108 ; 8-byte Folded Reload
	scratch_load_dwordx2 v[10:11], off, off offset:116 ; 8-byte Folded Reload
	s_waitcnt vmcnt(0)
	v_mul_f64 v[8:9], v[8:9], v[10:11]
	v_add_f64 v[10:11], v[18:19], -v[40:41]
	v_mul_f64 v[10:11], v[10:11], s[0:1]
	v_add_f64 v[18:19], v[68:69], -v[38:39]
	v_mul_f64 v[8:9], v[8:9], v[26:27]
	v_fma_f64 v[10:11], v[18:19], s[4:5], -v[10:11]
	v_mul_f64 v[8:9], v[8:9], v[10:11]
	v_mov_b64_e32 v[18:19], v[86:87]
	v_fmac_f64_e32 v[8:9], v[18:19], v[4:5]
	v_add_f64 v[4:5], v[12:13], -v[16:17]
	v_mul_f64 v[4:5], v[4:5], s[0:1]
	v_add_f64 v[10:11], v[70:71], -v[50:51]
	v_fma_f64 v[4:5], v[10:11], s[4:5], -v[4:5]
	v_mul_f64 v[2:3], v[2:3], v[4:5]
	scratch_load_dwordx2 v[4:5], off, off offset:76 ; 8-byte Folded Reload
	scratch_load_dwordx2 v[10:11], off, off offset:84 ; 8-byte Folded Reload
	v_mul_f64 v[2:3], v[122:123], v[2:3]
	scratch_load_dwordx2 v[12:13], off, off offset:12 ; 8-byte Folded Reload
	s_waitcnt vmcnt(1)
	v_mul_f64 v[4:5], v[4:5], v[10:11]
	v_mul_f64 v[0:1], v[4:5], v[0:1]
	v_add_f64 v[4:5], v[14:15], -v[36:37]
	v_mul_f64 v[4:5], v[4:5], s[0:1]
	v_add_f64 v[10:11], v[74:75], -v[72:73]
	v_fma_f64 v[4:5], v[10:11], s[4:5], -v[4:5]
	v_mul_f64 v[0:1], v[0:1], v[4:5]
	v_fmac_f64_e32 v[0:1], v[18:19], v[2:3]
	v_add_f64 v[0:1], v[8:9], -v[0:1]
	scratch_load_dwordx2 v[8:9], off, off offset:28 ; 8-byte Folded Reload
	scratch_load_dwordx2 v[10:11], off, off offset:36 ; 8-byte Folded Reload
	;; [unrolled: 1-line block ×3, first 2 shown]
	v_add_f64 v[4:5], v[44:45], -v[58:59]
	v_mul_f64 v[2:3], v[6:7], s[0:1]
	v_add_f64 v[6:7], v[64:65], -v[70:71]
	v_mul_f64 v[4:5], v[4:5], s[0:1]
	v_fma_f64 v[4:5], v[6:7], s[4:5], -v[4:5]
	v_fma_f64 v[0:1], v[0:1], s[4:5], -v[2:3]
	v_add_f64 v[2:3], v[56:57], -v[62:63]
	v_mul_f64 v[2:3], v[2:3], s[0:1]
	v_add_f64 v[0:1], v[30:31], v[0:1]
	s_waitcnt vmcnt(2)
	v_mul_f64 v[6:7], v[8:9], v[78:79]
	s_waitcnt vmcnt(1)
	v_mul_f64 v[6:7], v[10:11], v[6:7]
	v_mul_f64 v[4:5], v[4:5], v[6:7]
	;; [unrolled: 1-line block ×3, first 2 shown]
	v_add_f64 v[8:9], v[54:55], -v[66:67]
	v_mul_f64 v[4:5], v[124:125], v[4:5]
	v_mul_f64 v[6:7], v[10:11], v[6:7]
	;; [unrolled: 1-line block ×3, first 2 shown]
	v_add_f64 v[10:11], v[68:69], -v[74:75]
	v_mul_f64 v[4:5], v[18:19], v[4:5]
	v_fma_f64 v[8:9], v[10:11], s[4:5], -v[8:9]
	v_fmac_f64_e32 v[4:5], v[8:9], v[6:7]
	v_add_f64 v[8:9], v[48:49], -v[60:61]
	v_mul_f64 v[6:7], v[12:13], v[52:53]
	v_mul_f64 v[8:9], v[8:9], s[0:1]
	v_add_f64 v[10:11], v[22:23], -v[50:51]
	s_waitcnt vmcnt(0)
	v_mul_f64 v[6:7], v[14:15], v[6:7]
	v_fma_f64 v[8:9], v[10:11], s[4:5], -v[8:9]
	v_mul_f64 v[6:7], v[8:9], v[6:7]
	v_add_f64 v[10:11], v[46:47], -v[32:33]
	v_mul_f64 v[6:7], v[84:85], v[6:7]
	v_mul_f64 v[8:9], v[12:13], v[28:29]
	;; [unrolled: 1-line block ×3, first 2 shown]
	v_add_f64 v[12:13], v[38:39], -v[72:73]
	v_mul_f64 v[6:7], v[18:19], v[6:7]
	v_mul_f64 v[8:9], v[14:15], v[8:9]
	v_fma_f64 v[10:11], v[12:13], s[4:5], -v[10:11]
	v_fmac_f64_e32 v[6:7], v[10:11], v[8:9]
	v_add_f64 v[4:5], v[4:5], -v[6:7]
	v_fma_f64 v[2:3], v[4:5], s[4:5], -v[2:3]
	v_add_f64 v[0:1], v[0:1], v[2:3]
	scratch_load_dwordx2 v[2:3], off, off offset:196 ; 8-byte Folded Reload
	v_mul_f64 v[0:1], s[10:11], v[0:1]
	s_waitcnt vmcnt(0)
	v_mul_f64 v[0:1], v[2:3], v[0:1]
	v_fmac_f64_e32 v[0:1], s[8:9], v[82:83]
	global_store_dwordx2 v[80:81], v[0:1], off
.LBB1_2:
	s_endpgm
	.section	.rodata,"a",@progbits
	.p2align	6, 0x0
	.amdhsa_kernel _Z7kernel2iiiiiiiiiiiiddPKdS0_S0_S0_S0_PdS0_S0_S0_S0_S0_S0_S0_
		.amdhsa_group_segment_fixed_size 0
		.amdhsa_private_segment_fixed_size 780
		.amdhsa_kernarg_size 424
		.amdhsa_user_sgpr_count 2
		.amdhsa_user_sgpr_dispatch_ptr 0
		.amdhsa_user_sgpr_queue_ptr 0
		.amdhsa_user_sgpr_kernarg_segment_ptr 1
		.amdhsa_user_sgpr_dispatch_id 0
		.amdhsa_user_sgpr_kernarg_preload_length 0
		.amdhsa_user_sgpr_kernarg_preload_offset 0
		.amdhsa_user_sgpr_private_segment_size 0
		.amdhsa_uses_dynamic_stack 0
		.amdhsa_enable_private_segment 1
		.amdhsa_system_sgpr_workgroup_id_x 1
		.amdhsa_system_sgpr_workgroup_id_y 1
		.amdhsa_system_sgpr_workgroup_id_z 1
		.amdhsa_system_sgpr_workgroup_info 0
		.amdhsa_system_vgpr_workitem_id 2
		.amdhsa_next_free_vgpr 128
		.amdhsa_next_free_sgpr 25
		.amdhsa_accum_offset 128
		.amdhsa_reserve_vcc 1
		.amdhsa_float_round_mode_32 0
		.amdhsa_float_round_mode_16_64 0
		.amdhsa_float_denorm_mode_32 3
		.amdhsa_float_denorm_mode_16_64 3
		.amdhsa_dx10_clamp 1
		.amdhsa_ieee_mode 1
		.amdhsa_fp16_overflow 0
		.amdhsa_tg_split 0
		.amdhsa_exception_fp_ieee_invalid_op 0
		.amdhsa_exception_fp_denorm_src 0
		.amdhsa_exception_fp_ieee_div_zero 0
		.amdhsa_exception_fp_ieee_overflow 0
		.amdhsa_exception_fp_ieee_underflow 0
		.amdhsa_exception_fp_ieee_inexact 0
		.amdhsa_exception_int_div_zero 0
	.end_amdhsa_kernel
	.text
.Lfunc_end1:
	.size	_Z7kernel2iiiiiiiiiiiiddPKdS0_S0_S0_S0_PdS0_S0_S0_S0_S0_S0_S0_, .Lfunc_end1-_Z7kernel2iiiiiiiiiiiiddPKdS0_S0_S0_S0_PdS0_S0_S0_S0_S0_S0_S0_
                                        ; -- End function
	.set _Z7kernel2iiiiiiiiiiiiddPKdS0_S0_S0_S0_PdS0_S0_S0_S0_S0_S0_S0_.num_vgpr, 128
	.set _Z7kernel2iiiiiiiiiiiiddPKdS0_S0_S0_S0_PdS0_S0_S0_S0_S0_S0_S0_.num_agpr, 0
	.set _Z7kernel2iiiiiiiiiiiiddPKdS0_S0_S0_S0_PdS0_S0_S0_S0_S0_S0_S0_.numbered_sgpr, 25
	.set _Z7kernel2iiiiiiiiiiiiddPKdS0_S0_S0_S0_PdS0_S0_S0_S0_S0_S0_S0_.num_named_barrier, 0
	.set _Z7kernel2iiiiiiiiiiiiddPKdS0_S0_S0_S0_PdS0_S0_S0_S0_S0_S0_S0_.private_seg_size, 780
	.set _Z7kernel2iiiiiiiiiiiiddPKdS0_S0_S0_S0_PdS0_S0_S0_S0_S0_S0_S0_.uses_vcc, 1
	.set _Z7kernel2iiiiiiiiiiiiddPKdS0_S0_S0_S0_PdS0_S0_S0_S0_S0_S0_S0_.uses_flat_scratch, 0
	.set _Z7kernel2iiiiiiiiiiiiddPKdS0_S0_S0_S0_PdS0_S0_S0_S0_S0_S0_S0_.has_dyn_sized_stack, 0
	.set _Z7kernel2iiiiiiiiiiiiddPKdS0_S0_S0_S0_PdS0_S0_S0_S0_S0_S0_S0_.has_recursion, 0
	.set _Z7kernel2iiiiiiiiiiiiddPKdS0_S0_S0_S0_PdS0_S0_S0_S0_S0_S0_S0_.has_indirect_call, 0
	.section	.AMDGPU.csdata,"",@progbits
; Kernel info:
; codeLenInByte = 11112
; TotalNumSgprs: 31
; NumVgprs: 128
; NumAgprs: 0
; TotalNumVgprs: 128
; ScratchSize: 780
; MemoryBound: 0
; FloatMode: 240
; IeeeMode: 1
; LDSByteSize: 0 bytes/workgroup (compile time only)
; SGPRBlocks: 3
; VGPRBlocks: 15
; NumSGPRsForWavesPerEU: 31
; NumVGPRsForWavesPerEU: 128
; AccumOffset: 128
; Occupancy: 4
; WaveLimiterHint : 0
; COMPUTE_PGM_RSRC2:SCRATCH_EN: 1
; COMPUTE_PGM_RSRC2:USER_SGPR: 2
; COMPUTE_PGM_RSRC2:TRAP_HANDLER: 0
; COMPUTE_PGM_RSRC2:TGID_X_EN: 1
; COMPUTE_PGM_RSRC2:TGID_Y_EN: 1
; COMPUTE_PGM_RSRC2:TGID_Z_EN: 1
; COMPUTE_PGM_RSRC2:TIDIG_COMP_CNT: 2
; COMPUTE_PGM_RSRC3_GFX90A:ACCUM_OFFSET: 31
; COMPUTE_PGM_RSRC3_GFX90A:TG_SPLIT: 0
	.text
	.protected	_Z7kernel3iiiiiiiiiiiiddPKdS0_S0_S0_S0_PdS0_S0_S0_S0_S0_S0_S0_ ; -- Begin function _Z7kernel3iiiiiiiiiiiiddPKdS0_S0_S0_S0_PdS0_S0_S0_S0_S0_S0_S0_
	.globl	_Z7kernel3iiiiiiiiiiiiddPKdS0_S0_S0_S0_PdS0_S0_S0_S0_S0_S0_S0_
	.p2align	8
	.type	_Z7kernel3iiiiiiiiiiiiddPKdS0_S0_S0_S0_PdS0_S0_S0_S0_S0_S0_S0_,@function
_Z7kernel3iiiiiiiiiiiiddPKdS0_S0_S0_S0_PdS0_S0_S0_S0_S0_S0_S0_: ; @_Z7kernel3iiiiiiiiiiiiddPKdS0_S0_S0_S0_PdS0_S0_S0_S0_S0_S0_S0_
; %bb.0:
	s_load_dwordx2 s[6:7], s[0:1], 0xb4
	s_load_dwordx8 s[16:23], s[0:1], 0x0
	v_and_b32_e32 v1, 0x3ff, v0
	s_waitcnt lgkmcnt(0)
	s_and_b32 s5, s7, 0xffff
	s_lshr_b32 s7, s6, 16
	s_and_b32 s6, s6, 0xffff
	s_mul_i32 s2, s2, s6
	s_add_i32 s2, s2, s16
	v_add_u32_e32 v4, s2, v1
	s_mul_i32 s2, s3, s7
	s_add_i32 s2, s2, s18
	v_bfe_u32 v1, v0, 10, 10
	v_add_u32_e32 v8, s2, v1
	s_mul_i32 s2, s4, s5
	s_add_i32 s2, s2, s20
	v_bfe_u32 v0, v0, 20, 10
	v_add_u32_e32 v23, s2, v0
	v_cmp_gt_i32_e32 vcc, s17, v4
	v_cmp_gt_i32_e64 s[2:3], s19, v8
	s_and_b64 s[2:3], vcc, s[2:3]
	v_cmp_gt_i32_e32 vcc, s21, v23
	s_and_b64 s[2:3], s[2:3], vcc
	s_and_saveexec_b64 s[4:5], s[2:3]
	s_cbranch_execz .LBB2_2
; %bb.1:
	s_load_dwordx4 s[12:15], s[0:1], 0x98
	s_load_dwordx8 s[4:11], s[0:1], 0x20
	v_subrev_u32_e32 v0, s22, v4
	v_ashrrev_i32_e32 v1, 31, v0
	s_sub_i32 s20, s23, s22
	s_waitcnt lgkmcnt(0)
	v_lshl_add_u64 v[2:3], v[0:1], 3, s[12:13]
	v_subrev_u32_e32 v0, s4, v8
	v_ashrrev_i32_e32 v1, 31, v0
	v_lshl_add_u64 v[78:79], v[0:1], 3, s[14:15]
	s_load_dwordx4 s[24:27], s[0:1], 0x60
	s_load_dwordx8 s[12:19], s[0:1], 0x40
	s_not_b32 s0, s20
	s_mul_i32 s3, s4, s0
	s_sub_i32 s0, s5, s4
	s_add_i32 s20, s20, 1
	s_sub_i32 s1, s7, s6
	s_add_i32 s7, s0, 1
	s_mul_i32 s7, s7, s20
	s_add_i32 s0, s1, 1
	s_mul_i32 s1, s7, s6
	s_add_i32 s4, s22, s1
	v_mul_lo_u32 v6, v8, s20
	v_mul_lo_u32 v98, v23, s7
	s_mul_i32 s0, s0, s7
	s_sub_i32 s4, s3, s4
	v_add_u32_e32 v10, -2, v4
	v_add_u32_e32 v11, -1, v4
	v_add_u32_e32 v15, 1, v4
	v_add_u32_e32 v19, 2, v4
	;; [unrolled: 1-line block ×3, first 2 shown]
	v_add3_u32 v9, v98, v6, s4
	s_sub_i32 s4, s4, s0
	scratch_store_dword off, v10, off offset:300 ; 4-byte Folded Spill
	v_ashrrev_i32_e32 v5, 31, v4
	v_add_u32_e32 v10, v9, v10
	s_ashr_i32 s5, s4, 31
	v_add_u32_e32 v14, v9, v11
	v_add_u32_e32 v18, v9, v15
	;; [unrolled: 1-line block ×3, first 2 shown]
	scratch_store_dword off, v11, off offset:316 ; 4-byte Folded Spill
	scratch_store_dword off, v15, off offset:324 ; 4-byte Folded Spill
	;; [unrolled: 1-line block ×3, first 2 shown]
	v_ashrrev_i32_e32 v7, 31, v6
	v_add_u32_e32 v16, s4, v4
	v_ashrrev_i32_e32 v11, 31, v10
	v_lshl_add_u64 v[4:5], v[4:5], 0, s[4:5]
	v_ashrrev_i32_e32 v15, 31, v14
	v_ashrrev_i32_e32 v19, 31, v18
	;; [unrolled: 1-line block ×3, first 2 shown]
	v_add_u32_e32 v44, v6, v17
	v_add_u32_e32 v45, v6, v16
	s_waitcnt lgkmcnt(0)
	v_lshl_add_u64 v[10:11], v[10:11], 3, s[14:15]
	v_lshl_add_u64 v[4:5], v[4:5], 0, v[6:7]
	;; [unrolled: 1-line block ×5, first 2 shown]
	global_load_dwordx2 v[24:25], v[10:11], off
	global_load_dwordx2 v[42:43], v[14:15], off
	;; [unrolled: 1-line block ×4, first 2 shown]
	v_add_u32_e32 v0, v44, v98
	v_add_u32_e32 v48, v45, v98
	v_ashrrev_i32_e32 v1, 31, v0
	v_add_u32_e32 v6, s0, v48
	v_ashrrev_i32_e32 v99, 31, v98
	v_lshlrev_b64 v[12:13], 3, v[0:1]
                                        ; kill: killed $vgpr14_vgpr15
	v_add_u32_e32 v14, s0, v6
	s_ashr_i32 s1, s0, 31
	s_lshl_b32 s2, s0, 1
	v_lshl_add_u64 v[4:5], v[4:5], 0, v[98:99]
	v_lshl_add_u64 v[10:11], s[14:15], 0, v[12:13]
	v_ashrrev_i32_e32 v15, 31, v14
	s_ashr_i32 s3, s2, 31
	v_ashrrev_i32_e32 v49, 31, v48
	v_lshl_add_u64 v[4:5], v[4:5], 0, s[0:1]
	v_ashrrev_i32_e32 v7, 31, v6
	global_load_dwordx2 v[82:83], v[10:11], off
	v_lshlrev_b64 v[10:11], 3, v[14:15]
                                        ; kill: killed $vgpr18_vgpr19
	v_lshl_add_u64 v[18:19], v[48:49], 0, s[2:3]
	v_lshl_add_u64 v[4:5], v[4:5], 3, s[18:19]
	v_lshlrev_b64 v[38:39], 3, v[6:7]
	v_mov_b64_e32 v[46:47], v[10:11]
	v_lshl_add_u64 v[0:1], s[24:25], 0, v[12:13]
	v_lshl_add_u64 v[6:7], v[18:19], 3, s[12:13]
	global_load_dwordx4 v[62:65], v[4:5], off offset:-16
	v_lshl_add_u64 v[4:5], s[18:19], 0, v[38:39]
	v_lshl_add_u64 v[14:15], s[12:13], 0, v[10:11]
	scratch_store_dwordx2 off, v[46:47], off offset:100 ; 8-byte Folded Spill
	global_load_dwordx4 v[72:75], v[2:3], off
	global_load_dwordx4 v[58:61], v[2:3], off offset:-16
	global_load_dwordx4 v[50:53], v[78:79], off
	global_load_dwordx4 v[68:71], v[4:5], off
	global_load_dwordx4 v[30:33], v[14:15], off offset:-8
	s_mul_i32 s1, s0, 3
	global_load_dwordx2 v[0:1], v[0:1], off
	s_mov_b32 s3, 0x3fc55555
	s_mov_b32 s5, 0x3fe55555
	s_waitcnt vmcnt(12)
	scratch_store_dwordx2 off, v[24:25], off offset:420 ; 8-byte Folded Spill
	s_waitcnt vmcnt(12)
	scratch_store_dwordx2 off, v[42:43], off offset:240 ; 8-byte Folded Spill
	;; [unrolled: 2-line block ×4, first 2 shown]
	global_load_dwordx2 v[6:7], v[6:7], off offset:-16
	s_nop 0
	global_load_dwordx2 v[76:77], v[4:5], off offset:16
	global_load_dwordx2 v[66:67], v[2:3], off offset:16
	global_load_dwordx4 v[18:21], v[14:15], off offset:8
	v_add_u32_e32 v2, -2, v8
	v_mul_lo_u32 v124, v2, s20
	v_add3_u32 v2, v98, v124, v17
	v_ashrrev_i32_e32 v3, 31, v2
	v_lshlrev_b64 v[2:3], 3, v[2:3]
	v_lshl_add_u64 v[4:5], s[14:15], 0, v[2:3]
	v_lshl_add_u64 v[2:3], s[16:17], 0, v[2:3]
	global_load_dwordx2 v[40:41], v[2:3], off
	v_add_u32_e32 v2, v124, v16
	v_add_u32_e32 v3, v2, v98
	scratch_store_dword off, v2, off offset:132 ; 4-byte Folded Spill
	v_add_u32_e32 v2, s0, v3
	v_mov_b32_e32 v49, v3
	v_ashrrev_i32_e32 v3, 31, v2
	v_lshl_add_u64 v[2:3], v[2:3], 3, s[18:19]
	v_add_u32_e32 v14, s20, v124
	global_load_dwordx2 v[86:87], v[2:3], off
	v_add3_u32 v2, v98, v14, v17
	v_ashrrev_i32_e32 v3, 31, v2
	v_lshlrev_b64 v[2:3], 3, v[2:3]
	v_lshl_add_u64 v[8:9], s[14:15], 0, v[2:3]
	v_lshl_add_u64 v[2:3], s[16:17], 0, v[2:3]
	global_load_dwordx2 v[34:35], v[2:3], off
	v_add_u32_e32 v2, v14, v16
	v_mov_b32_e32 v88, v14
	v_add_u32_e32 v3, v2, v98
	global_load_dwordx2 v[4:5], v[4:5], off
	v_mov_b32_e32 v22, v3
	scratch_store_dword off, v49, off offset:184 ; 4-byte Folded Spill
	global_load_dwordx2 v[8:9], v[8:9], off
	s_waitcnt vmcnt(18)
	v_mul_f64 v[10:11], v[72:73], v[50:51]
	v_lshl_add_u32 v99, s20, 1, v88
	v_add_u32_e32 v125, s20, v99
	s_waitcnt vmcnt(15)
	v_div_scale_f64 v[14:15], vcc, v[10:11], v[0:1], v[10:11]
	s_waitcnt vmcnt(10)
	v_add_f64 v[6:7], v[6:7], -v[32:33]
	s_waitcnt vmcnt(6)
	scratch_store_dwordx2 off, v[40:41], off offset:8 ; 8-byte Folded Spill
	s_waitcnt vmcnt(4)
	scratch_store_dwordx2 off, v[34:35], off ; 8-byte Folded Spill
	scratch_store_dword off, v88, off offset:656 ; 4-byte Folded Spill
	scratch_store_dword off, v2, off offset:136 ; 4-byte Folded Spill
	v_add_u32_e32 v2, s0, v3
	v_ashrrev_i32_e32 v3, 31, v2
	v_lshl_add_u64 v[2:3], v[2:3], 3, s[18:19]
	global_load_dwordx2 v[84:85], v[2:3], off
	v_lshl_add_u64 v[2:3], s[16:17], 0, v[12:13]
	global_load_dwordx2 v[80:81], v[2:3], off
	global_load_dwordx4 v[54:57], v[78:79], off offset:-16
	v_div_scale_f64 v[2:3], s[22:23], v[0:1], v[0:1], v[10:11]
	v_rcp_f64_e32 v[12:13], v[2:3]
	scratch_store_dword off, v22, off offset:88 ; 4-byte Folded Spill
	v_fma_f64 v[26:27], -v[2:3], v[12:13], 1.0
	v_fmac_f64_e32 v[12:13], v[12:13], v[26:27]
	v_fma_f64 v[26:27], -v[2:3], v[12:13], 1.0
	v_fmac_f64_e32 v[12:13], v[12:13], v[26:27]
	v_mul_f64 v[26:27], v[14:15], v[12:13]
	v_fma_f64 v[2:3], -v[2:3], v[26:27], v[14:15]
	v_div_fmas_f64 v[2:3], v[2:3], v[12:13], v[26:27]
	v_div_scale_f64 v[12:13], s[22:23], v[50:51], v[50:51], 1.0
	v_rcp_f64_e32 v[26:27], v[12:13]
	v_div_fixup_f64 v[0:1], v[2:3], v[0:1], v[10:11]
	v_div_scale_f64 v[14:15], s[22:23], v[72:73], v[72:73], 1.0
	v_fma_f64 v[2:3], -v[12:13], v[26:27], 1.0
	v_fmac_f64_e32 v[26:27], v[26:27], v[2:3]
	v_fma_f64 v[2:3], -v[12:13], v[26:27], 1.0
	v_rcp_f64_e32 v[10:11], v[14:15]
	scratch_store_dwordx2 off, v[0:1], off offset:72 ; 8-byte Folded Spill
	v_div_scale_f64 v[0:1], vcc, 1.0, v[50:51], 1.0
	v_fmac_f64_e32 v[26:27], v[26:27], v[2:3]
	v_mul_f64 v[2:3], v[0:1], v[26:27]
	v_fma_f64 v[0:1], -v[12:13], v[2:3], v[0:1]
	s_nop 0
	v_div_fmas_f64 v[0:1], v[0:1], v[26:27], v[2:3]
	v_fma_f64 v[2:3], -v[14:15], v[10:11], 1.0
	v_fmac_f64_e32 v[10:11], v[10:11], v[2:3]
	v_fma_f64 v[2:3], -v[14:15], v[10:11], 1.0
	scratch_store_dwordx2 off, v[0:1], off offset:400 ; 8-byte Folded Spill
	v_div_scale_f64 v[0:1], vcc, 1.0, v[72:73], 1.0
	v_fmac_f64_e32 v[10:11], v[10:11], v[2:3]
	v_mul_f64 v[2:3], v[0:1], v[10:11]
	v_fma_f64 v[0:1], -v[14:15], v[2:3], v[0:1]
	s_nop 0
	v_div_fmas_f64 v[0:1], v[0:1], v[10:11], v[2:3]
	scratch_store_dwordx2 off, v[0:1], off offset:444 ; 8-byte Folded Spill
	scratch_store_dwordx4 off, v[62:65], off offset:428 ; 16-byte Folded Spill
	v_mul_f64 v[0:1], v[24:25], v[62:63]
	v_mov_b64_e32 v[24:25], v[82:83]
	v_mul_f64 v[2:3], v[36:37], v[64:65]
	v_mul_f64 v[26:27], v[62:63], v[0:1]
	;; [unrolled: 1-line block ×7, first 2 shown]
	v_fma_f64 v[10:11], v[58:59], v[26:27], v[0:1]
	v_mov_b64_e32 v[12:13], v[2:3]
	v_fmac_f64_e32 v[12:13], 0xbfe80000, v[10:11]
	v_mul_f64 v[10:11], v[42:43], v[70:71]
	v_mul_f64 v[14:15], v[70:71], v[10:11]
	;; [unrolled: 1-line block ×3, first 2 shown]
	scratch_store_dwordx2 off, v[26:27], off offset:384 ; 8-byte Folded Spill
	v_mov_b64_e32 v[42:43], v[14:15]
	v_fma_f64 v[14:15], v[58:59], v[26:27], v[10:11]
	v_fma_f64 v[26:27], v[60:61], v[36:37], v[0:1]
	v_fmac_f64_e32 v[14:15], 0x40080000, v[26:27]
	v_add_f64 v[26:27], v[30:31], -v[32:33]
	v_mul_f64 v[100:101], v[14:15], v[26:27]
	v_fmac_f64_e32 v[100:101], v[12:13], v[6:7]
	v_mul_f64 v[6:7], v[28:29], v[76:77]
	v_mul_f64 v[12:13], v[76:77], v[6:7]
	v_fmac_f64_e32 v[2:3], v[66:67], v[12:13]
	v_fma_f64 v[6:7], v[74:75], v[42:43], v[0:1]
	v_fmac_f64_e32 v[2:3], 0x40080000, v[6:7]
	v_add_f64 v[6:7], v[18:19], -v[32:33]
	v_fmac_f64_e32 v[0:1], v[66:67], v[12:13]
	v_fmac_f64_e32 v[100:101], v[2:3], v[6:7]
	v_fmac_f64_e32 v[10:11], 0xbfe80000, v[0:1]
	v_add_f64 v[0:1], v[20:21], -v[32:33]
	v_fmac_f64_e32 v[100:101], v[10:11], v[0:1]
	s_waitcnt vmcnt(15)
	v_fma_f64 v[0:1], 2.0, v[4:5], v[40:41]
	scratch_store_dwordx2 off, v[36:37], off offset:340 ; 8-byte Folded Spill
	scratch_store_dwordx4 off, v[58:61], off offset:248 ; 16-byte Folded Spill
	scratch_store_dwordx2 off, v[42:43], off offset:368 ; 8-byte Folded Spill
	scratch_store_dwordx2 off, v[76:77], off offset:512 ; 8-byte Folded Spill
	;; [unrolled: 1-line block ×6, first 2 shown]
	v_mul_f64 v[0:1], v[0:1], v[86:87]
	v_mul_f64 v[2:3], v[86:87], v[0:1]
	s_waitcnt vmcnt(21)
	v_fma_f64 v[0:1], 2.0, v[8:9], v[34:35]
	scratch_store_dwordx2 off, v[0:1], off offset:80 ; 8-byte Folded Spill
	s_waitcnt vmcnt(17)
	scratch_store_dwordx2 off, v[84:85], off offset:16 ; 8-byte Folded Spill
	v_mul_f64 v[0:1], v[0:1], v[84:85]
	s_waitcnt vmcnt(17)
	v_fma_f64 v[4:5], 2.0, v[24:25], v[80:81]
	v_mul_f64 v[8:9], v[84:85], v[0:1]
	v_mul_f64 v[0:1], v[68:69], v[4:5]
	;; [unrolled: 1-line block ×3, first 2 shown]
	scratch_store_dwordx4 off, v[68:71], off offset:264 ; 16-byte Folded Spill
	s_waitcnt vmcnt(17)
	v_mul_f64 v[6:7], v[56:57], v[8:9]
	scratch_store_dwordx4 off, v[54:57], off offset:152 ; 16-byte Folded Spill
	v_mov_b64_e32 v[70:71], v[4:5]
	v_mul_f64 v[4:5], v[50:51], v[0:1]
	v_fma_f64 v[10:11], v[54:55], v[2:3], v[4:5]
	v_mov_b64_e32 v[0:1], v[6:7]
	v_fmac_f64_e32 v[0:1], 0xbfe80000, v[10:11]
	v_add3_u32 v10, v98, v99, v17
	v_ashrrev_i32_e32 v11, 31, v10
	v_lshlrev_b64 v[10:11], 3, v[10:11]
	v_lshl_add_u64 v[12:13], s[14:15], 0, v[10:11]
	v_lshl_add_u64 v[10:11], s[16:17], 0, v[10:11]
	global_load_dwordx2 v[18:19], v[10:11], off
	v_add_u32_e32 v10, v99, v16
	scratch_store_dword off, v10, off offset:416 ; 4-byte Folded Spill
	v_add_u32_e32 v10, v10, v98
	scratch_store_dword off, v10, off offset:140 ; 4-byte Folded Spill
	v_add_u32_e32 v10, s0, v10
	v_ashrrev_i32_e32 v11, 31, v10
	global_load_dwordx2 v[12:13], v[12:13], off
	v_lshl_add_u64 v[14:15], v[10:11], 3, s[18:19]
	global_load_dwordx2 v[14:15], v[14:15], off
	v_fma_f64 v[8:9], v[56:57], v[8:9], v[4:5]
	v_add_u32_e32 v11, v125, v16
	v_add_u32_e32 v10, s0, v10
	scratch_store_dword off, v11, off offset:348 ; 4-byte Folded Spill
	v_mov_b64_e32 v[66:67], v[82:83]
	v_add_f64 v[42:43], v[66:67], v[80:81]
	s_waitcnt vmcnt(5)
	scratch_store_dwordx2 off, v[18:19], off offset:24 ; 8-byte Folded Spill
	s_waitcnt vmcnt(3)
	v_fma_f64 v[12:13], 2.0, v[12:13], v[18:19]
	scratch_store_dwordx2 off, v[12:13], off offset:144 ; 8-byte Folded Spill
	s_waitcnt vmcnt(3)
	v_mul_f64 v[12:13], v[12:13], v[14:15]
	v_mul_f64 v[18:19], v[14:15], v[12:13]
	;; [unrolled: 1-line block ×3, first 2 shown]
	v_fma_f64 v[2:3], v[54:55], v[2:3], v[12:13]
	v_fmac_f64_e32 v[2:3], 0x40080000, v[8:9]
	v_add_u32_e32 v8, s2, v22
	v_ashrrev_i32_e32 v9, 31, v8
	v_lshlrev_b64 v[8:9], 3, v[8:9]
	scratch_store_dwordx2 off, v[8:9], off offset:92 ; 8-byte Folded Spill
	v_lshl_add_u64 v[8:9], s[12:13], 0, v[8:9]
	global_load_dwordx2 v[8:9], v[8:9], off
	v_fma_f64 v[18:19], v[52:53], v[18:19], v[4:5]
	scratch_store_dwordx2 off, v[14:15], off offset:48 ; 8-byte Folded Spill
	s_waitcnt vmcnt(1)
	v_add_f64 v[8:9], v[8:9], -v[32:33]
	v_mul_f64 v[28:29], v[2:3], v[8:9]
	v_add_u32_e32 v2, s2, v49
	v_ashrrev_i32_e32 v3, 31, v2
	v_lshlrev_b64 v[2:3], 3, v[2:3]
	scratch_store_dwordx2 off, v[2:3], off offset:168 ; 8-byte Folded Spill
	v_lshl_add_u64 v[2:3], s[12:13], 0, v[2:3]
	global_load_dwordx2 v[2:3], v[2:3], off
	s_waitcnt vmcnt(0)
	v_add_f64 v[2:3], v[2:3], -v[32:33]
	v_fmac_f64_e32 v[28:29], v[0:1], v[2:3]
	v_add3_u32 v0, v98, v125, v17
	v_ashrrev_i32_e32 v1, 31, v0
	v_lshlrev_b64 v[0:1], 3, v[0:1]
	v_lshl_add_u64 v[2:3], s[14:15], 0, v[0:1]
	v_lshl_add_u64 v[0:1], s[16:17], 0, v[0:1]
	global_load_dwordx2 v[2:3], v[2:3], off
	s_nop 0
	global_load_dwordx2 v[8:9], v[0:1], off
	v_add_u32_e32 v0, v11, v98
	scratch_store_dword off, v0, off offset:220 ; 4-byte Folded Spill
	v_add_u32_e32 v0, s0, v0
	v_ashrrev_i32_e32 v1, 31, v0
	v_lshl_add_u64 v[20:21], v[0:1], 3, s[18:19]
	global_load_dwordx2 v[14:15], v[20:21], off
	v_ashrrev_i32_e32 v11, 31, v10
	v_add_u32_e32 v0, s0, v0
	v_ashrrev_i32_e32 v1, 31, v0
	global_load_dwordx2 v[16:17], v[78:79], off offset:16
	v_lshlrev_b64 v[0:1], 3, v[0:1]
	scratch_store_dwordx2 off, v[0:1], off offset:204 ; 8-byte Folded Spill
	v_lshl_add_u64 v[0:1], s[12:13], 0, v[0:1]
	global_load_dwordx2 v[0:1], v[0:1], off
	s_waitcnt vmcnt(5)
	v_fma_f64 v[2:3], 2.0, v[2:3], v[8:9]
	scratch_store_dwordx2 off, v[8:9], off offset:32 ; 8-byte Folded Spill
	v_lshlrev_b64 v[8:9], 3, v[10:11]
	v_lshl_add_u64 v[10:11], s[12:13], 0, v[8:9]
	global_load_dwordx2 v[10:11], v[10:11], off
	s_waitcnt vmcnt(2)
	v_add_f64 v[0:1], v[0:1], -v[32:33]
	scratch_store_dwordx2 off, v[2:3], off offset:212 ; 8-byte Folded Spill
	v_mul_f64 v[2:3], v[2:3], v[14:15]
	v_mul_f64 v[2:3], v[14:15], v[2:3]
	v_fmac_f64_e32 v[6:7], v[16:17], v[2:3]
	v_fmac_f64_e32 v[6:7], 0x40080000, v[18:19]
	;; [unrolled: 1-line block ×4, first 2 shown]
	scratch_store_dwordx2 off, v[8:9], off offset:196 ; 8-byte Folded Spill
	scratch_store_dwordx2 off, v[16:17], off offset:224 ; 8-byte Folded Spill
	;; [unrolled: 1-line block ×3, first 2 shown]
	s_waitcnt vmcnt(4)
	v_add_f64 v[10:11], v[10:11], -v[32:33]
	v_fmac_f64_e32 v[28:29], v[6:7], v[10:11]
	v_fmac_f64_e32 v[28:29], v[12:13], v[0:1]
	v_add_u32_e32 v0, -2, v23
	v_mul_lo_u32 v1, v0, s7
	v_add_u32_e32 v0, v1, v44
	v_mov_b32_e32 v4, v1
	v_ashrrev_i32_e32 v1, 31, v0
	v_lshlrev_b64 v[0:1], 3, v[0:1]
	v_lshl_add_u64 v[2:3], s[14:15], 0, v[0:1]
	v_lshl_add_u64 v[0:1], s[16:17], 0, v[0:1]
	v_add_u32_e32 v8, v4, v45
	global_load_dwordx2 v[12:13], v[0:1], off
	v_add_u32_e32 v0, s2, v8
	v_ashrrev_i32_e32 v1, 31, v0
	v_lshlrev_b64 v[36:37], 3, v[0:1]
	v_add_u32_e32 v0, s0, v0
	v_ashrrev_i32_e32 v1, 31, v0
	v_lshlrev_b64 v[0:1], 3, v[0:1]
	scratch_store_dwordx2 off, v[0:1], off offset:624 ; 8-byte Folded Spill
	v_lshl_add_u64 v[0:1], s[18:19], 0, v[0:1]
	global_load_dwordx2 v[122:123], v[0:1], off
	v_add_u32_e32 v1, s7, v4
	v_add_u32_e32 v0, v1, v44
	scratch_store_dword off, v4, off offset:364 ; 4-byte Folded Spill
	v_mov_b32_e32 v4, v1
	v_ashrrev_i32_e32 v1, 31, v0
	global_load_dwordx2 v[108:109], v[2:3], off
	v_lshl_add_u64 v[2:3], s[18:19], 0, v[36:37]
	v_lshlrev_b64 v[0:1], 3, v[0:1]
	global_load_dwordx2 v[96:97], v[2:3], off
	v_lshl_add_u64 v[2:3], s[14:15], 0, v[0:1]
	v_lshl_add_u64 v[0:1], s[16:17], 0, v[0:1]
	v_add_u32_e32 v9, v4, v45
	global_load_dwordx2 v[76:77], v[0:1], off
	v_add_u32_e32 v0, s2, v9
	v_ashrrev_i32_e32 v1, 31, v0
	v_lshlrev_b64 v[16:17], 3, v[0:1]
	v_add_u32_e32 v0, s0, v0
	v_ashrrev_i32_e32 v1, 31, v0
	v_lshlrev_b64 v[118:119], 3, v[0:1]
	v_lshl_add_u64 v[0:1], s[18:19], 0, v[118:119]
	global_load_dwordx2 v[62:63], v[0:1], off
	v_add_u32_e32 v0, s1, v48
	v_ashrrev_i32_e32 v1, 31, v0
	global_load_dwordx2 v[120:121], v[2:3], off
	v_lshl_add_u64 v[2:3], s[18:19], 0, v[16:17]
	v_lshlrev_b64 v[104:105], 3, v[0:1]
	v_lshl_add_u64 v[0:1], s[18:19], 0, v[46:47]
	global_load_dwordx2 v[88:89], v[2:3], off
	global_load_dwordx4 v[54:57], v[0:1], off
	v_lshl_add_u64 v[2:3], s[18:19], 0, v[104:105]
	global_load_dwordx4 v[24:27], v[2:3], off
	v_mov_b32_e32 v6, v4
	scratch_store_dwordx2 off, v[0:1], off offset:536 ; 8-byte Folded Spill
	scratch_store_dwordx2 off, v[2:3], off offset:544 ; 8-byte Folded Spill
	v_lshl_add_u32 v14, s7, 1, v6
	scratch_store_dword off, v6, off offset:296 ; 4-byte Folded Spill
	v_add_u32_e32 v49, v14, v45
	v_add_u32_e32 v110, s0, v9
	v_ashrrev_i32_e32 v111, 31, v110
	v_add_u32_e32 v112, s0, v8
	v_ashrrev_i32_e32 v113, 31, v112
	;; [unrolled: 2-line block ×3, first 2 shown]
	s_waitcnt vmcnt(14)
	v_mov_b64_e32 v[90:91], v[12:13]
	scratch_store_dwordx2 off, v[90:91], off offset:616 ; 8-byte Folded Spill
	s_waitcnt vmcnt(11)
	scratch_store_dwordx2 off, v[108:109], off offset:56 ; 8-byte Folded Spill
	s_waitcnt vmcnt(8)
	v_add_f64 v[2:3], v[120:121], v[76:77]
	scratch_store_dwordx2 off, v[2:3], off offset:640 ; 8-byte Folded Spill
	scratch_store_dwordx2 off, v[120:121], off offset:188 ; 8-byte Folded Spill
	s_waitcnt vmcnt(9)
	v_mul_f64 v[2:3], v[2:3], v[88:89]
	s_waitcnt vmcnt(8)
	v_mul_f64 v[0:1], v[42:43], v[54:55]
	v_mul_f64 v[58:59], v[2:3], v[62:63]
	s_waitcnt vmcnt(7)
	v_mul_f64 v[46:47], v[0:1], v[24:25]
	v_add_f64 v[0:1], v[108:109], v[12:13]
	scratch_store_dwordx2 off, v[0:1], off offset:632 ; 8-byte Folded Spill
	v_mul_f64 v[0:1], v[0:1], v[96:97]
	v_fma_f64 v[4:5], v[0:1], v[122:123], v[46:47]
	v_mov_b64_e32 v[10:11], v[58:59]
	v_fmac_f64_e32 v[10:11], 0xbfe80000, v[4:5]
	v_add_u32_e32 v4, v14, v44
	v_ashrrev_i32_e32 v5, 31, v4
	v_lshlrev_b64 v[4:5], 3, v[4:5]
	v_lshl_add_u64 v[6:7], s[14:15], 0, v[4:5]
	global_load_dwordx2 v[12:13], v[6:7], off
	v_add_u32_e32 v6, s2, v49
	v_ashrrev_i32_e32 v7, 31, v6
	v_lshlrev_b64 v[20:21], 3, v[6:7]
	v_add_u32_e32 v6, s0, v6
	v_lshl_add_u64 v[4:5], s[16:17], 0, v[4:5]
	v_ashrrev_i32_e32 v7, 31, v6
	global_load_dwordx2 v[82:83], v[4:5], off
	v_lshl_add_u64 v[18:19], s[18:19], 0, v[20:21]
	v_lshlrev_b64 v[64:65], 3, v[6:7]
	global_load_dwordx2 v[102:103], v[18:19], off
	v_lshl_add_u64 v[6:7], s[18:19], 0, v[64:65]
	global_load_dwordx2 v[34:35], v[6:7], off
	v_fma_f64 v[2:3], v[2:3], v[62:63], v[46:47]
	v_mov_b32_e32 v4, v14
	scratch_store_dword off, v4, off offset:360 ; 4-byte Folded Spill
	scratch_store_dwordx4 off, v[54:57], off offset:476 ; 16-byte Folded Spill
	s_waitcnt vmcnt(4)
	v_add_f64 v[6:7], v[12:13], v[82:83]
	scratch_store_dwordx2 off, v[6:7], off offset:648 ; 8-byte Folded Spill
	s_waitcnt vmcnt(4)
	v_mul_f64 v[30:31], v[6:7], v[102:103]
	s_waitcnt vmcnt(3)
	v_mul_f64 v[60:61], v[30:31], v[34:35]
	v_fma_f64 v[0:1], v[0:1], v[122:123], v[60:61]
	v_fmac_f64_e32 v[0:1], 0x40080000, v[2:3]
	v_lshl_add_u64 v[2:3], s[12:13], 0, v[38:39]
	global_load_dwordx2 v[94:95], v[2:3], off
	v_lshlrev_b64 v[2:3], 3, v[110:111]
	scratch_store_dwordx2 off, v[2:3], off offset:452 ; 8-byte Folded Spill
	v_lshl_add_u64 v[2:3], s[12:13], 0, v[2:3]
	global_load_dwordx4 v[38:41], v[2:3], off
	v_fma_f64 v[30:31], v[30:31], v[34:35], v[46:47]
	scratch_store_dwordx2 off, v[2:3], off offset:552 ; 8-byte Folded Spill
	s_waitcnt vmcnt(1)
	v_add_f64 v[2:3], v[38:39], -v[94:95]
	v_mul_f64 v[14:15], v[0:1], v[2:3]
	v_lshlrev_b64 v[0:1], 3, v[112:113]
	v_lshl_add_u64 v[126:127], s[12:13], 0, v[0:1]
	scratch_store_dwordx2 off, v[0:1], off offset:528 ; 8-byte Folded Spill
	global_load_dwordx4 v[0:3], v[126:127], off
	s_nop 0
	scratch_store_dwordx4 off, v[38:41], off offset:560 ; 16-byte Folded Spill
	s_waitcnt vmcnt(1)
	scratch_store_dwordx4 off, v[0:3], off offset:600 ; 16-byte Folded Spill
	s_nop 1
	v_add_f64 v[2:3], v[0:1], -v[94:95]
	v_add_u32_e32 v0, s7, v4
	v_fmac_f64_e32 v[14:15], v[10:11], v[2:3]
	v_add_u32_e32 v2, v0, v44
	v_ashrrev_i32_e32 v3, 31, v2
	v_lshlrev_b64 v[2:3], 3, v[2:3]
	scratch_store_dword off, v0, off offset:500 ; 4-byte Folded Spill
	v_lshl_add_u64 v[10:11], s[14:15], 0, v[2:3]
	v_lshl_add_u64 v[2:3], s[16:17], 0, v[2:3]
	v_add_u32_e32 v0, v0, v45
	global_load_dwordx2 v[92:93], v[2:3], off
	v_add_u32_e32 v2, s2, v0
	v_ashrrev_i32_e32 v3, 31, v2
	v_lshlrev_b64 v[18:19], 3, v[2:3]
	v_add_u32_e32 v2, s0, v2
	v_ashrrev_i32_e32 v3, 31, v2
	v_lshlrev_b64 v[40:41], 3, v[2:3]
	global_load_dwordx2 v[8:9], v[10:11], off
	v_lshl_add_u64 v[10:11], s[18:19], 0, v[18:19]
	v_lshl_add_u64 v[2:3], s[18:19], 0, v[40:41]
	global_load_dwordx2 v[68:69], v[10:11], off
	global_load_dwordx2 v[22:23], v[2:3], off
	v_lshlrev_b64 v[2:3], 3, v[80:81]
	v_lshl_add_u64 v[116:117], s[12:13], 0, v[2:3]
	scratch_store_dwordx2 off, v[2:3], off offset:576 ; 8-byte Folded Spill
	global_load_dwordx4 v[2:5], v[116:117], off
	s_mov_b32 s2, 0x55555555
	s_waitcnt vmcnt(4)
	v_add_f64 v[106:107], v[8:9], v[92:93]
	s_waitcnt vmcnt(3)
	v_mul_f64 v[44:45], v[106:107], v[68:69]
	s_waitcnt vmcnt(2)
	v_fmac_f64_e32 v[58:59], v[44:45], v[22:23]
	v_fmac_f64_e32 v[58:59], 0x40080000, v[30:31]
	v_fmac_f64_e32 v[46:47], v[44:45], v[22:23]
	v_fmac_f64_e32 v[60:61], 0xbfe80000, v[46:47]
	s_waitcnt vmcnt(0)
	v_add_f64 v[38:39], v[2:3], -v[94:95]
	v_fmac_f64_e32 v[14:15], v[58:59], v[38:39]
	v_add_u32_e32 v58, s0, v0
	v_ashrrev_i32_e32 v59, 31, v58
	v_lshlrev_b64 v[38:39], 3, v[58:59]
	v_lshl_add_u64 v[78:79], s[12:13], 0, v[38:39]
	global_load_dwordx4 v[84:87], v[78:79], off
	v_mov_b64_e32 v[30:31], v[8:9]
	scratch_store_dwordx4 off, v[2:5], off offset:584 ; 16-byte Folded Spill
	scratch_store_dwordx2 off, v[30:31], off offset:352 ; 8-byte Folded Spill
	s_waitcnt vmcnt(2)
	v_add_f64 v[44:45], v[84:85], -v[94:95]
	v_fmac_f64_e32 v[14:15], v[60:61], v[44:45]
	v_add_u32_e32 v44, s1, v112
	v_ashrrev_i32_e32 v45, 31, v44
	v_lshl_add_u64 v[44:45], v[44:45], 3, s[18:19]
	global_load_dwordx2 v[114:115], v[44:45], off
	v_mul_f64 v[44:45], v[72:73], v[96:97]
	v_mul_f64 v[44:45], v[96:97], v[44:45]
	v_mov_b64_e32 v[84:85], v[82:83]
	s_waitcnt vmcnt(0)
	v_mul_f64 v[60:61], v[114:115], v[114:115]
	v_fmac_f64_e32 v[60:61], v[72:73], v[44:45]
	v_fma_f64 v[44:45], 2.0, v[108:109], v[90:91]
	v_mul_f64 v[4:5], v[44:45], v[122:123]
	v_mul_f64 v[44:45], v[50:51], v[4:5]
	;; [unrolled: 1-line block ×4, first 2 shown]
	v_fmac_f64_e32 v[60:61], v[50:51], v[44:45]
	v_add_u32_e32 v44, s1, v110
	v_ashrrev_i32_e32 v45, 31, v44
	v_lshl_add_u64 v[44:45], v[44:45], 3, s[18:19]
	global_load_dwordx2 v[90:91], v[44:45], off
	v_mul_f64 v[44:45], v[72:73], v[88:89]
	v_mul_f64 v[44:45], v[88:89], v[44:45]
	scratch_store_dwordx2 off, v[4:5], off offset:408 ; 8-byte Folded Spill
	v_mov_b64_e32 v[108:109], v[12:13]
	scratch_store_dwordx2 off, v[108:109], off offset:176 ; 8-byte Folded Spill
	scratch_store_dwordx2 off, v[114:115], off offset:280 ; 8-byte Folded Spill
	s_waitcnt vmcnt(3)
	v_mul_f64 v[94:95], v[90:91], v[90:91]
	v_fmac_f64_e32 v[94:95], v[72:73], v[44:45]
	v_fma_f64 v[44:45], 2.0, v[120:121], v[76:77]
	v_mul_f64 v[4:5], v[44:45], v[62:63]
	v_mul_f64 v[44:45], v[50:51], v[4:5]
	v_mul_f64 v[44:45], v[62:63], v[44:45]
	v_mul_f64 v[110:111], v[120:121], v[94:95]
	v_fmac_f64_e32 v[110:111], v[50:51], v[44:45]
	v_lshl_add_u32 v44, s0, 2, v48
	v_ashrrev_i32_e32 v45, 31, v44
	v_lshl_add_u64 v[44:45], v[44:45], 3, s[18:19]
	global_load_dwordx2 v[112:113], v[44:45], off
	v_mul_f64 v[44:45], v[72:73], v[54:55]
	v_mul_f64 v[44:45], v[54:55], v[44:45]
	scratch_store_dwordx2 off, v[4:5], off offset:308 ; 8-byte Folded Spill
	v_mov_b64_e32 v[4:5], v[50:51]
	v_mov_b64_e32 v[54:55], v[72:73]
	;; [unrolled: 1-line block ×5, first 2 shown]
	scratch_store_dwordx4 off, v[4:7], off offset:460 ; 16-byte Folded Spill
	scratch_store_dwordx2 off, v[90:91], off offset:116 ; 8-byte Folded Spill
	scratch_load_dwordx2 v[6:7], off, off offset:648 ; 8-byte Folded Reload
	s_waitcnt vmcnt(4)
	v_mul_f64 v[48:49], v[112:113], v[112:113]
	v_fmac_f64_e32 v[48:49], v[72:73], v[44:45]
	v_mul_f64 v[44:45], v[70:71], v[24:25]
	v_mul_f64 v[44:45], v[4:5], v[44:45]
	;; [unrolled: 1-line block ×4, first 2 shown]
	v_fmac_f64_e32 v[94:95], v[4:5], v[44:45]
	v_add_u32_e32 v44, s1, v80
	v_ashrrev_i32_e32 v45, 31, v44
	v_lshl_add_u64 v[44:45], v[44:45], 3, s[18:19]
	global_load_dwordx2 v[10:11], v[44:45], off
	v_mul_f64 v[44:45], v[72:73], v[102:103]
	v_mul_f64 v[44:45], v[102:103], v[44:45]
	v_lshl_add_u64 v[80:81], s[12:13], 0, v[16:17]
	v_lshl_add_u64 v[70:71], s[12:13], 0, v[36:37]
	;; [unrolled: 1-line block ×3, first 2 shown]
	s_waitcnt vmcnt(0)
	v_mul_f64 v[48:49], v[10:11], v[10:11]
	v_fmac_f64_e32 v[48:49], v[72:73], v[44:45]
	global_load_dwordx4 v[72:75], v[80:81], off
	v_fma_f64 v[44:45], 2.0, v[12:13], v[82:83]
	v_mul_f64 v[0:1], v[44:45], v[34:35]
	v_mul_f64 v[44:45], v[4:5], v[0:1]
	;; [unrolled: 1-line block ×4, first 2 shown]
	v_fmac_f64_e32 v[2:3], v[4:5], v[44:45]
	v_add_f64 v[44:45], v[60:61], v[94:95]
	v_fmac_f64_e32 v[52:53], 0xbfe80000, v[44:45]
	v_add_f64 v[44:45], v[60:61], v[2:3]
	v_add_f64 v[48:49], v[110:111], v[94:95]
	v_fmac_f64_e32 v[44:45], 0x40080000, v[48:49]
	scratch_store_dwordx2 off, v[0:1], off offset:376 ; 8-byte Folded Spill
	scratch_store_dwordx2 off, v[10:11], off offset:124 ; 8-byte Folded Spill
	s_waitcnt vmcnt(2)
	v_add_f64 v[48:49], v[72:73], -v[32:33]
	v_mul_f64 v[0:1], v[48:49], v[44:45]
	global_load_dwordx4 v[44:47], v[70:71], off
	s_waitcnt vmcnt(0)
	v_add_f64 v[48:49], v[44:45], -v[32:33]
	v_fmac_f64_e32 v[0:1], v[48:49], v[52:53]
	v_add_u32_e32 v48, s1, v58
	v_ashrrev_i32_e32 v49, 31, v48
	v_lshl_add_u64 v[48:49], v[48:49], 3, s[18:19]
	global_load_dwordx2 v[16:17], v[48:49], off
	v_mov_b64_e32 v[48:49], v[54:55]
	v_mul_f64 v[52:53], v[48:49], v[68:69]
	v_mov_b64_e32 v[50:51], v[56:57]
	v_mul_f64 v[52:53], v[68:69], v[52:53]
	s_waitcnt vmcnt(0)
	v_mul_f64 v[54:55], v[16:17], v[16:17]
	v_fmac_f64_e32 v[54:55], v[48:49], v[52:53]
	v_fma_f64 v[52:53], 2.0, v[30:31], v[92:93]
	v_mul_f64 v[12:13], v[52:53], v[22:23]
	v_mul_f64 v[52:53], v[4:5], v[12:13]
	;; [unrolled: 1-line block ×4, first 2 shown]
	v_fmac_f64_e32 v[58:59], v[4:5], v[52:53]
	v_add_f64 v[60:61], v[110:111], v[58:59]
	v_add_f64 v[52:53], v[94:95], v[2:3]
	v_lshl_add_u64 v[110:111], s[12:13], 0, v[20:21]
	v_fmac_f64_e32 v[60:61], 0x40080000, v[52:53]
	global_load_dwordx4 v[52:55], v[110:111], off
	s_nop 0
	scratch_store_dwordx2 off, v[12:13], off offset:492 ; 8-byte Folded Spill
	s_waitcnt vmcnt(1)
	v_add_f64 v[12:13], v[52:53], -v[32:33]
	v_fmac_f64_e32 v[0:1], v[12:13], v[60:61]
	v_add_f64 v[12:13], v[94:95], v[58:59]
	v_fmac_f64_e32 v[2:3], 0xbfe80000, v[12:13]
	v_lshl_add_u64 v[12:13], s[12:13], 0, v[18:19]
	global_load_dwordx4 v[58:61], v[12:13], off
	s_waitcnt vmcnt(0)
	v_add_f64 v[8:9], v[58:59], -v[32:33]
	v_fmac_f64_e32 v[0:1], v[8:9], v[2:3]
	scratch_load_dwordx2 v[2:3], off, off offset:400 ; 8-byte Folded Reload
	v_mul_f64 v[0:1], v[0:1], s[2:3]
	s_waitcnt vmcnt(0)
	v_div_fixup_f64 v[58:59], v[2:3], v[4:5], 1.0
	scratch_load_dwordx2 v[2:3], off, off offset:444 ; 8-byte Folded Reload
	scratch_load_dwordx2 v[4:5], off, off offset:640 ; 8-byte Folded Reload
	s_waitcnt vmcnt(1)
	v_div_fixup_f64 v[52:53], v[2:3], v[48:49], 1.0
	v_mul_f64 v[2:3], v[100:101], s[2:3]
	v_fma_f64 v[56:57], v[58:59], v[2:3], 0
	v_mul_f64 v[2:3], v[28:29], s[2:3]
	v_fmac_f64_e32 v[56:57], v[52:53], v[2:3]
	v_fmac_f64_e32 v[56:57], s[2:3], v[14:15]
	v_mul_f64 v[2:3], v[52:53], v[58:59]
	v_fmac_f64_e32 v[56:57], v[2:3], v[0:1]
	scratch_load_dwordx2 v[2:3], off, off offset:632 ; 8-byte Folded Reload
	v_mul_f64 v[0:1], v[42:43], v[24:25]
	s_waitcnt vmcnt(1)
	v_mul_f64 v[4:5], v[4:5], v[62:63]
	v_mul_f64 v[0:1], v[0:1], v[112:113]
	;; [unrolled: 1-line block ×3, first 2 shown]
	v_mov_b64_e32 v[28:29], v[8:9]
	v_fma_f64 v[4:5], v[4:5], v[90:91], v[0:1]
	s_waitcnt vmcnt(0)
	v_mul_f64 v[2:3], v[2:3], v[122:123]
	v_fma_f64 v[14:15], v[2:3], v[114:115], v[0:1]
	v_fmac_f64_e32 v[28:29], 0xbfe80000, v[14:15]
	v_mul_f64 v[14:15], v[6:7], v[34:35]
	v_mul_f64 v[32:33], v[14:15], v[10:11]
	v_fma_f64 v[2:3], v[2:3], v[114:115], v[32:33]
	v_fmac_f64_e32 v[2:3], 0x40080000, v[4:5]
	v_lshl_add_u64 v[4:5], s[12:13], 0, v[104:105]
	global_load_dwordx2 v[4:5], v[4:5], off
	s_nop 0
	global_load_dwordx2 v[36:37], v[36:37], off
	v_fma_f64 v[14:15], v[14:15], v[10:11], v[0:1]
	scratch_load_dwordx2 v[6:7], off, off offset:624 ; 8-byte Folded Reload
	s_waitcnt vmcnt(1)
	v_add_f64 v[36:37], v[36:37], -v[4:5]
	v_mul_f64 v[2:3], v[2:3], v[36:37]
	s_waitcnt vmcnt(0)
	v_lshl_add_u64 v[36:37], s[12:13], 0, v[6:7]
	global_load_dwordx2 v[36:37], v[36:37], off
	s_waitcnt vmcnt(0)
	v_add_f64 v[36:37], v[36:37], -v[4:5]
	v_fmac_f64_e32 v[2:3], v[28:29], v[36:37]
	v_mul_f64 v[28:29], v[106:107], v[22:23]
	v_fmac_f64_e32 v[8:9], v[28:29], v[16:17]
	v_fmac_f64_e32 v[8:9], 0x40080000, v[14:15]
	v_lshl_add_u64 v[14:15], s[12:13], 0, v[64:65]
	v_fmac_f64_e32 v[0:1], v[28:29], v[16:17]
	global_load_dwordx2 v[14:15], v[14:15], off
	v_fmac_f64_e32 v[32:33], 0xbfe80000, v[0:1]
	v_lshl_add_u64 v[0:1], s[12:13], 0, v[40:41]
	global_load_dwordx2 v[0:1], v[0:1], off
	s_waitcnt vmcnt(1)
	v_add_f64 v[14:15], v[14:15], -v[4:5]
	v_fmac_f64_e32 v[2:3], v[8:9], v[14:15]
	scratch_store_dwordx2 off, v[16:17], off offset:288 ; 8-byte Folded Spill
	s_waitcnt vmcnt(1)
	v_add_f64 v[0:1], v[0:1], -v[4:5]
	v_fmac_f64_e32 v[2:3], v[32:33], v[0:1]
	scratch_load_dword v1, off, off offset:332 ; 4-byte Folded Reload
	v_add_u32_e32 v0, s0, v98
	v_mul_f64 v[2:3], v[2:3], s[2:3]
	s_mov_b32 s3, 0x3fb55555
	s_waitcnt vmcnt(0)
	v_add3_u32 v94, v1, s4, v0
	scratch_load_dword v1, off, off offset:300 ; 4-byte Folded Reload
	s_waitcnt vmcnt(0)
	v_add3_u32 v95, v1, s4, v0
	scratch_load_dword v1, off, off offset:324 ; 4-byte Folded Reload
	v_add_u32_e32 v4, v95, v125
	v_ashrrev_i32_e32 v5, 31, v4
	v_lshl_add_u64 v[4:5], v[4:5], 3, s[12:13]
	v_add_u32_e32 v18, v95, v124
	v_ashrrev_i32_e32 v19, 31, v18
	v_lshl_add_u64 v[18:19], v[18:19], 3, s[12:13]
	s_waitcnt vmcnt(0)
	v_add3_u32 v98, v1, s4, v0
	scratch_load_dword v1, off, off offset:316 ; 4-byte Folded Reload
	v_add_u32_e32 v8, v98, v125
	v_ashrrev_i32_e32 v9, 31, v8
	v_lshl_add_u64 v[8:9], v[8:9], 3, s[12:13]
	v_add_u32_e32 v28, v98, v124
	v_ashrrev_i32_e32 v29, 31, v28
	v_lshl_add_u64 v[28:29], v[28:29], 3, s[12:13]
	s_waitcnt vmcnt(0)
	v_add3_u32 v100, v1, s4, v0
	v_add_u32_e32 v0, v94, v125
	v_add_u32_e32 v10, v100, v125
	v_ashrrev_i32_e32 v1, 31, v0
	v_ashrrev_i32_e32 v11, 31, v10
	v_lshl_add_u64 v[0:1], v[0:1], 3, s[12:13]
	v_lshl_add_u64 v[10:11], v[10:11], 3, s[12:13]
	global_load_dwordx2 v[0:1], v[0:1], off
	s_nop 0
	global_load_dwordx2 v[4:5], v[4:5], off
	s_nop 0
	global_load_dwordx2 v[8:9], v[8:9], off
	s_mov_b32 s4, s2
	global_load_dwordx2 v[10:11], v[10:11], off
	v_add_u32_e32 v32, v100, v124
	scratch_store_dwordx2 off, v[2:3], off offset:300 ; 8-byte Folded Spill
	v_ashrrev_i32_e32 v33, 31, v32
	v_lshl_add_u64 v[32:33], v[32:33], 3, s[12:13]
	v_add_u32_e32 v66, v100, v99
	v_ashrrev_i32_e32 v67, 31, v66
	v_lshl_add_u64 v[66:67], v[66:67], 3, s[12:13]
	s_waitcnt vmcnt(3)
	v_add_f64 v[2:3], v[0:1], -v[4:5]
	v_mul_f64 v[2:3], v[2:3], s[2:3]
	s_waitcnt vmcnt(1)
	v_add_f64 v[14:15], v[8:9], -v[10:11]
	v_fma_f64 v[2:3], v[14:15], s[4:5], -v[2:3]
	v_add_u32_e32 v14, v94, v124
	v_ashrrev_i32_e32 v15, 31, v14
	v_lshl_add_u64 v[14:15], v[14:15], 3, s[12:13]
	global_load_dwordx2 v[14:15], v[14:15], off
	s_nop 0
	global_load_dwordx2 v[18:19], v[18:19], off
	s_waitcnt vmcnt(1)
	v_add_f64 v[0:1], v[0:1], -v[14:15]
	global_load_dwordx2 v[28:29], v[28:29], off
	s_waitcnt vmcnt(1)
	v_add_f64 v[36:37], v[14:15], -v[18:19]
	global_load_dwordx2 v[32:33], v[32:33], off
	s_nop 0
	scratch_load_dwordx2 v[6:7], off, off offset:40 ; 8-byte Folded Reload
	scratch_load_dwordx2 v[20:21], off, off offset:8 ; 8-byte Folded Reload
	v_mul_f64 v[36:37], v[36:37], s[2:3]
	v_mul_f64 v[0:1], v[0:1], s[2:3]
	s_waitcnt vmcnt(2)
	v_add_f64 v[40:41], v[28:29], -v[32:33]
	v_fma_f64 v[36:37], v[40:41], s[4:5], -v[36:37]
	s_waitcnt vmcnt(0)
	v_mul_f64 v[40:41], v[20:21], v[6:7]
	scratch_load_dwordx2 v[118:119], off, off offset:64 ; 8-byte Folded Reload
	scratch_load_dwordx2 v[20:21], off, off offset:32 ; 8-byte Folded Reload
	v_mul_f64 v[40:41], v[6:7], v[40:41]
	v_mul_f64 v[36:37], v[40:41], v[36:37]
	s_waitcnt vmcnt(0)
	v_mul_f64 v[40:41], v[20:21], v[118:119]
	v_mul_f64 v[40:41], v[118:119], v[40:41]
	v_fma_f64 v[2:3], v[40:41], v[2:3], -v[36:37]
	scratch_store_dwordx2 off, v[2:3], off offset:316 ; 8-byte Folded Spill
	v_add_u32_e32 v2, v94, v99
	v_add_u32_e32 v36, v95, v99
	v_ashrrev_i32_e32 v3, 31, v2
	v_ashrrev_i32_e32 v37, 31, v36
	v_add_u32_e32 v40, v98, v99
	v_lshl_add_u64 v[2:3], v[2:3], 3, s[12:13]
	v_lshl_add_u64 v[36:37], v[36:37], 3, s[12:13]
	v_ashrrev_i32_e32 v41, 31, v40
	global_load_dwordx2 v[2:3], v[2:3], off
	s_nop 0
	global_load_dwordx2 v[36:37], v[36:37], off
	v_lshl_add_u64 v[40:41], v[40:41], 3, s[12:13]
	global_load_dwordx2 v[40:41], v[40:41], off
	s_waitcnt vmcnt(1)
	v_add_f64 v[82:83], v[2:3], -v[36:37]
	global_load_dwordx2 v[66:67], v[66:67], off
	v_mul_f64 v[82:83], v[82:83], s[2:3]
	scratch_load_dword v6, off, off offset:656 ; 4-byte Folded Reload
	s_waitcnt vmcnt(1)
	v_add_f64 v[90:91], v[40:41], -v[66:67]
	v_fma_f64 v[82:83], v[90:91], s[4:5], -v[82:83]
	s_waitcnt vmcnt(0)
	v_add_u32_e32 v90, v94, v6
	v_add_u32_e32 v94, v95, v6
	;; [unrolled: 1-line block ×4, first 2 shown]
	v_ashrrev_i32_e32 v91, 31, v90
	v_ashrrev_i32_e32 v95, 31, v94
	;; [unrolled: 1-line block ×4, first 2 shown]
	v_lshl_add_u64 v[90:91], v[90:91], 3, s[12:13]
	v_lshl_add_u64 v[94:95], v[94:95], 3, s[12:13]
	;; [unrolled: 1-line block ×4, first 2 shown]
	global_load_dwordx2 v[90:91], v[90:91], off
	s_nop 0
	global_load_dwordx2 v[94:95], v[94:95], off
	s_nop 0
	global_load_dwordx2 v[98:99], v[98:99], off
	s_waitcnt vmcnt(2)
	v_add_f64 v[2:3], v[2:3], -v[90:91]
	global_load_dwordx2 v[100:101], v[100:101], off
	s_nop 0
	scratch_load_dwordx2 v[20:21], off, off offset:16 ; 8-byte Folded Reload
	scratch_load_dwordx2 v[42:43], off, off ; 8-byte Folded Reload
	s_waitcnt vmcnt(4)
	v_add_f64 v[104:105], v[90:91], -v[94:95]
	v_mul_f64 v[104:105], v[104:105], s[2:3]
	v_fma_f64 v[0:1], v[2:3], s[4:5], -v[0:1]
	v_add_f64 v[2:3], v[4:5], -v[18:19]
	v_add_f64 v[4:5], v[36:37], -v[94:95]
	v_mul_f64 v[2:3], v[2:3], s[2:3]
	v_fma_f64 v[2:3], v[4:5], s[4:5], -v[2:3]
	s_waitcnt vmcnt(2)
	v_add_f64 v[112:113], v[98:99], -v[100:101]
	v_fma_f64 v[104:105], v[112:113], s[4:5], -v[104:105]
	s_waitcnt vmcnt(0)
	v_mul_f64 v[112:113], v[42:43], v[20:21]
	v_mul_f64 v[112:113], v[20:21], v[112:113]
	scratch_load_dwordx2 v[6:7], off, off offset:48 ; 8-byte Folded Reload
	scratch_load_dwordx2 v[20:21], off, off offset:24 ; 8-byte Folded Reload
	;; [unrolled: 1-line block ×3, first 2 shown]
	v_mul_f64 v[104:105], v[112:113], v[104:105]
	s_waitcnt vmcnt(1)
	v_mul_f64 v[112:113], v[20:21], v[6:7]
	s_waitcnt vmcnt(0)
	v_mul_f64 v[2:3], v[4:5], v[2:3]
	scratch_load_dwordx2 v[4:5], off, off offset:392 ; 8-byte Folded Reload
	v_mul_f64 v[112:113], v[6:7], v[112:113]
	v_fma_f64 v[6:7], v[112:113], v[82:83], -v[104:105]
	scratch_store_dwordx2 off, v[6:7], off offset:324 ; 8-byte Folded Spill
	s_waitcnt vmcnt(1)
	v_fma_f64 v[0:1], v[4:5], v[0:1], -v[2:3]
	scratch_store_dwordx2 off, v[0:1], off offset:332 ; 8-byte Folded Spill
	v_add_f64 v[0:1], v[8:9], -v[28:29]
	v_add_f64 v[2:3], v[40:41], -v[98:99]
	v_mul_f64 v[0:1], v[0:1], s[2:3]
	v_fma_f64 v[0:1], v[2:3], s[4:5], -v[0:1]
	v_add_f64 v[2:3], v[10:11], -v[32:33]
	v_add_f64 v[4:5], v[66:67], -v[100:101]
	v_mul_f64 v[2:3], v[2:3], s[2:3]
	v_fma_f64 v[2:3], v[4:5], s[4:5], -v[2:3]
	scratch_load_dwordx2 v[4:5], off, off offset:340 ; 8-byte Folded Reload
	v_add_f64 v[98:99], v[54:55], -v[74:75]
	s_waitcnt vmcnt(0)
	v_mul_f64 v[2:3], v[4:5], v[2:3]
	scratch_load_dwordx2 v[4:5], off, off offset:368 ; 8-byte Folded Reload
	s_waitcnt vmcnt(0)
	v_fma_f64 v[0:1], v[4:5], v[0:1], -v[2:3]
	scratch_store_dwordx2 off, v[0:1], off offset:340 ; 8-byte Folded Spill
	global_load_dwordx2 v[28:29], v[78:79], off offset:16
	s_nop 0
	global_load_dwordx4 v[0:3], v[78:79], off offset:-16
	v_mul_f64 v[4:5], v[92:93], v[22:23]
	v_add_f64 v[78:79], v[60:61], -v[46:47]
	s_waitcnt vmcnt(0)
	v_add_f64 v[6:7], v[28:29], -v[0:1]
	v_mul_f64 v[6:7], v[6:7], s[2:3]
	v_add_f64 v[8:9], v[86:87], -v[2:3]
	v_fma_f64 v[6:7], v[8:9], s[4:5], -v[6:7]
	global_load_dwordx2 v[32:33], v[12:13], off offset:16
	global_load_dwordx4 v[8:11], v[12:13], off offset:-16
	global_load_dwordx4 v[18:21], v[126:127], off offset:-16
	global_load_dwordx2 v[40:41], v[70:71], off offset:16
	s_waitcnt vmcnt(2)
	v_add_f64 v[12:13], v[32:33], -v[8:9]
	v_mul_f64 v[12:13], v[12:13], s[2:3]
	v_add_f64 v[14:15], v[60:61], -v[10:11]
	v_fma_f64 v[12:13], v[14:15], s[4:5], -v[12:13]
	v_lshl_add_u64 v[14:15], s[18:19], 0, v[38:39]
	global_load_dwordx2 v[16:17], v[14:15], off
	v_mul_f64 v[14:15], v[30:31], v[68:69]
	s_waitcnt vmcnt(2)
	v_add_f64 v[64:65], v[2:3], -v[20:21]
	v_add_f64 v[36:37], v[0:1], -v[18:19]
	s_waitcnt vmcnt(0)
	v_mul_f64 v[38:39], v[14:15], v[16:17]
	v_mul_f64 v[12:13], v[38:39], v[12:13]
	;; [unrolled: 1-line block ×5, first 2 shown]
	v_fmac_f64_e32 v[12:13], v[4:5], v[6:7]
	scratch_store_dwordx2 off, v[12:13], off offset:368 ; 8-byte Folded Spill
	scratch_load_dwordx4 v[12:15], off, off offset:600 ; 16-byte Folded Reload
	v_mov_b64_e32 v[42:43], v[16:17]
	scratch_load_dwordx2 v[4:5], off, off offset:616 ; 8-byte Folded Reload
	s_waitcnt vmcnt(1)
	v_mov_b64_e32 v[6:7], v[14:15]
	v_add_f64 v[68:69], v[86:87], -v[6:7]
	v_add_f64 v[6:7], v[6:7], -v[20:21]
	global_load_dwordx2 v[20:21], v[126:127], off offset:16
	s_waitcnt vmcnt(0)
	v_add_f64 v[0:1], v[20:21], -v[18:19]
	v_mul_f64 v[0:1], v[0:1], s[2:3]
	v_fma_f64 v[6:7], v[6:7], s[4:5], -v[0:1]
	global_load_dwordx4 v[0:3], v[70:71], off offset:-16
	s_waitcnt vmcnt(0)
	v_add_f64 v[12:13], v[46:47], -v[2:3]
	v_add_f64 v[72:73], v[10:11], -v[2:3]
	scratch_load_dwordx2 v[2:3], off, off offset:528 ; 8-byte Folded Reload
	v_add_f64 v[18:19], v[8:9], -v[0:1]
	v_mul_f64 v[4:5], v[4:5], v[122:123]
	v_add_f64 v[0:1], v[40:41], -v[0:1]
	v_mul_f64 v[0:1], v[0:1], s[2:3]
	v_fma_f64 v[0:1], v[12:13], s[4:5], -v[0:1]
	s_waitcnt vmcnt(0)
	v_lshl_add_u64 v[2:3], s[18:19], 0, v[2:3]
	global_load_dwordx2 v[8:9], v[2:3], off
	s_waitcnt vmcnt(0)
	v_mul_f64 v[2:3], v[4:5], v[8:9]
	scratch_load_dwordx2 v[4:5], off, off offset:56 ; 8-byte Folded Reload
	v_mov_b64_e32 v[86:87], v[8:9]
	s_waitcnt vmcnt(0)
	v_mul_f64 v[4:5], v[4:5], v[96:97]
	v_mul_f64 v[60:61], v[4:5], v[8:9]
	;; [unrolled: 1-line block ×5, first 2 shown]
	v_fmac_f64_e32 v[0:1], v[2:3], v[6:7]
	scratch_store_dwordx2 off, v[0:1], off offset:384 ; 8-byte Folded Spill
	global_load_dwordx2 v[16:17], v[116:117], off offset:16
	s_nop 0
	global_load_dwordx4 v[0:3], v[116:117], off offset:-16
	scratch_load_dwordx4 v[8:11], off, off offset:584 ; 16-byte Folded Reload
	v_mov_b64_e32 v[46:47], v[48:49]
	v_mul_f64 v[4:5], v[84:85], v[34:35]
	v_mov_b64_e32 v[48:49], v[50:51]
	s_waitcnt vmcnt(1)
	v_add_f64 v[6:7], v[16:17], -v[0:1]
	s_waitcnt vmcnt(0)
	v_mov_b64_e32 v[22:23], v[10:11]
	v_mul_f64 v[6:7], v[6:7], s[2:3]
	v_add_f64 v[8:9], v[22:23], -v[2:3]
	v_fma_f64 v[10:11], v[8:9], s[4:5], -v[6:7]
	global_load_dwordx2 v[30:31], v[110:111], off offset:16
	global_load_dwordx4 v[6:9], v[110:111], off offset:-16
	s_waitcnt vmcnt(0)
	v_add_f64 v[12:13], v[30:31], -v[6:7]
	v_mul_f64 v[12:13], v[12:13], s[2:3]
	v_add_f64 v[14:15], v[54:55], -v[8:9]
	v_fma_f64 v[12:13], v[14:15], s[4:5], -v[12:13]
	scratch_load_dwordx2 v[14:15], off, off offset:576 ; 8-byte Folded Reload
	s_waitcnt vmcnt(0)
	v_lshl_add_u64 v[14:15], s[18:19], 0, v[14:15]
	global_load_dwordx2 v[24:25], v[14:15], off
	v_mul_f64 v[14:15], v[108:109], v[102:103]
	s_waitcnt vmcnt(0)
	v_mul_f64 v[102:103], v[14:15], v[24:25]
	v_mul_f64 v[12:13], v[102:103], v[12:13]
	;; [unrolled: 1-line block ×5, first 2 shown]
	v_fmac_f64_e32 v[12:13], v[4:5], v[10:11]
	scratch_store_dwordx2 off, v[12:13], off offset:392 ; 8-byte Folded Spill
	scratch_load_dwordx4 v[10:13], off, off offset:560 ; 16-byte Folded Reload
	v_mov_b64_e32 v[50:51], v[24:25]
	v_mul_f64 v[24:25], v[76:77], v[62:63]
	scratch_store_dwordx2 off, v[50:51], off offset:528 ; 8-byte Folded Spill
	s_waitcnt vmcnt(1)
	v_mov_b64_e32 v[4:5], v[12:13]
	v_add_f64 v[14:15], v[22:23], -v[4:5]
	scratch_load_dwordx2 v[22:23], off, off offset:552 ; 8-byte Folded Reload
	s_waitcnt vmcnt(0)
	global_load_dwordx4 v[10:13], v[22:23], off offset:-16
	s_waitcnt vmcnt(0)
	v_add_f64 v[34:35], v[4:5], -v[12:13]
	v_add_f64 v[4:5], v[2:3], -v[12:13]
	global_load_dwordx2 v[12:13], v[22:23], off offset:16
	v_add_f64 v[44:45], v[0:1], -v[10:11]
	s_waitcnt vmcnt(0)
	v_add_f64 v[0:1], v[12:13], -v[10:11]
	v_mul_f64 v[0:1], v[0:1], s[2:3]
	v_fma_f64 v[10:11], v[34:35], s[4:5], -v[0:1]
	global_load_dwordx4 v[0:3], v[80:81], off offset:-16
	s_waitcnt vmcnt(0)
	v_add_f64 v[100:101], v[8:9], -v[2:3]
	scratch_load_dwordx2 v[8:9], off, off offset:452 ; 8-byte Folded Reload
	v_add_f64 v[34:35], v[74:75], -v[2:3]
	global_load_dwordx2 v[2:3], v[80:81], off offset:16
	v_add_f64 v[6:7], v[6:7], -v[0:1]
	s_waitcnt vmcnt(1)
	v_lshl_add_u64 v[8:9], s[18:19], 0, v[8:9]
	global_load_dwordx2 v[22:23], v[8:9], off
	s_waitcnt vmcnt(1)
	v_add_f64 v[0:1], v[2:3], -v[0:1]
	v_mul_f64 v[0:1], v[0:1], s[2:3]
	v_fma_f64 v[0:1], v[34:35], s[4:5], -v[0:1]
	v_add_f64 v[2:3], v[30:31], -v[2:3]
	s_waitcnt vmcnt(0)
	v_mul_f64 v[8:9], v[24:25], v[22:23]
	v_mul_f64 v[24:25], v[120:121], v[88:89]
	scratch_store_dwordx2 off, v[22:23], off offset:452 ; 8-byte Folded Spill
	v_mul_f64 v[22:23], v[24:25], v[22:23]
	v_mul_f64 v[0:1], v[22:23], v[0:1]
	;; [unrolled: 1-line block ×4, first 2 shown]
	v_fmac_f64_e32 v[0:1], v[8:9], v[10:11]
	scratch_store_dwordx2 off, v[0:1], off offset:400 ; 8-byte Folded Spill
	v_add_f64 v[0:1], v[28:29], -v[20:21]
	scratch_load_dwordx2 v[20:21], off, off offset:544 ; 8-byte Folded Reload
	v_add_f64 v[8:9], v[16:17], -v[12:13]
	scratch_store_dwordx2 off, v[22:23], off offset:444 ; 8-byte Folded Spill
	v_mul_f64 v[0:1], v[0:1], s[2:3]
	v_fma_f64 v[0:1], v[8:9], s[4:5], -v[0:1]
	s_waitcnt vmcnt(1)
	global_load_dwordx2 v[8:9], v[20:21], off offset:16
	scratch_load_dwordx2 v[12:13], off, off offset:520 ; 8-byte Folded Reload
	scratch_load_dwordx2 v[16:17], off, off offset:536 ; 8-byte Folded Reload
	s_waitcnt vmcnt(1)
	v_mul_f64 v[8:9], v[12:13], v[8:9]
	s_waitcnt vmcnt(0)
	global_load_dwordx2 v[10:11], v[16:17], off offset:16
	s_waitcnt vmcnt(0)
	v_mul_f64 v[10:11], v[12:13], v[10:11]
	scratch_load_dwordx2 v[12:13], off, off offset:512 ; 8-byte Folded Reload
	s_waitcnt vmcnt(0)
	v_mul_f64 v[8:9], v[12:13], v[8:9]
	v_mul_f64 v[10:11], v[12:13], v[10:11]
	v_add_f64 v[12:13], v[32:33], -v[40:41]
	v_mul_f64 v[12:13], v[12:13], s[2:3]
	v_fma_f64 v[2:3], v[2:3], s[4:5], -v[12:13]
	v_mul_f64 v[2:3], v[2:3], v[10:11]
	scratch_load_dwordx2 v[10:11], off, off offset:504 ; 8-byte Folded Reload
	s_waitcnt vmcnt(0)
	v_mul_f64 v[2:3], v[10:11], v[2:3]
	v_mul_f64 v[46:47], v[58:59], v[2:3]
	v_fmac_f64_e32 v[46:47], v[0:1], v[8:9]
	v_mul_f64 v[0:1], v[36:37], s[2:3]
	global_load_dwordx4 v[32:35], v[16:17], off offset:-16
	scratch_load_dwordx2 v[10:11], off, off offset:420 ; 8-byte Folded Reload
	v_fma_f64 v[54:55], v[44:45], s[4:5], -v[0:1]
	v_mul_f64 v[0:1], v[18:19], s[2:3]
	scratch_load_dwordx4 v[16:19], off, off offset:428 ; 16-byte Folded Reload
	v_fma_f64 v[2:3], v[6:7], s[4:5], -v[0:1]
	global_load_dwordx4 v[6:9], v[20:21], off offset:-16
	s_waitcnt vmcnt(2)
	v_mul_f64 v[0:1], v[10:11], v[32:33]
	scratch_load_dwordx4 v[20:23], off, off offset:476 ; 16-byte Folded Reload
	s_waitcnt vmcnt(2)
	v_mul_f64 v[0:1], v[16:17], v[0:1]
	v_mul_f64 v[0:1], v[2:3], v[0:1]
	s_waitcnt vmcnt(1)
	v_mul_f64 v[2:3], v[10:11], v[6:7]
	v_mov_b64_e32 v[10:11], v[16:17]
	v_mov_b64_e32 v[12:13], v[18:19]
	scratch_load_dwordx4 v[16:19], off, off offset:248 ; 16-byte Folded Reload
	v_mul_f64 v[2:3], v[10:11], v[2:3]
	s_waitcnt vmcnt(0)
	v_mul_f64 v[0:1], v[16:17], v[0:1]
	v_mul_f64 v[66:67], v[58:59], v[0:1]
	v_fmac_f64_e32 v[66:67], v[54:55], v[2:3]
	scratch_load_dwordx2 v[2:3], off, off offset:240 ; 8-byte Folded Reload
	s_waitcnt vmcnt(0)
	v_mul_f64 v[0:1], v[2:3], v[26:27]
	v_mul_f64 v[2:3], v[2:3], v[22:23]
	scratch_load_dwordx4 v[20:23], off, off offset:264 ; 16-byte Folded Reload
	s_waitcnt vmcnt(0)
	v_mov_b64_e32 v[6:7], v[22:23]
	v_mul_f64 v[0:1], v[6:7], v[0:1]
	v_mul_f64 v[2:3], v[6:7], v[2:3]
	;; [unrolled: 1-line block ×3, first 2 shown]
	v_fma_f64 v[6:7], v[98:99], s[4:5], -v[6:7]
	v_mul_f64 v[2:3], v[6:7], v[2:3]
	v_mul_f64 v[2:3], v[48:49], v[2:3]
	;; [unrolled: 1-line block ×3, first 2 shown]
	scratch_load_dwordx2 v[2:3], off, off offset:232 ; 8-byte Folded Reload
	v_mul_f64 v[6:7], v[68:69], s[2:3]
	v_fma_f64 v[6:7], v[14:15], s[4:5], -v[6:7]
	v_fmac_f64_e32 v[54:55], v[6:7], v[0:1]
	v_mov_b64_e32 v[6:7], v[12:13]
	v_mov_b64_e32 v[48:49], v[86:87]
	s_waitcnt vmcnt(0)
	v_mul_f64 v[0:1], v[2:3], v[8:9]
	v_mul_f64 v[2:3], v[2:3], v[34:35]
	;; [unrolled: 1-line block ×5, first 2 shown]
	v_fma_f64 v[6:7], v[100:101], s[4:5], -v[6:7]
	v_mul_f64 v[2:3], v[6:7], v[2:3]
	v_mul_f64 v[6:7], v[64:65], s[2:3]
	scratch_load_dword v65, off, off offset:348 ; 4-byte Folded Reload
	scratch_load_dword v73, off, off offset:500 ; 4-byte Folded Reload
	v_mul_f64 v[2:3], v[18:19], v[2:3]
	v_fma_f64 v[4:5], v[4:5], s[4:5], -v[6:7]
	v_mul_f64 v[58:59], v[58:59], v[2:3]
	v_fmac_f64_e32 v[58:59], v[4:5], v[0:1]
	s_waitcnt vmcnt(1)
	v_mov_b32_e32 v27, v65
	s_waitcnt vmcnt(0)
	v_add3_u32 v0, v65, v73, s0
	v_ashrrev_i32_e32 v1, 31, v0
	v_lshl_add_u64 v[2:3], v[0:1], 3, s[12:13]
	global_load_dwordx2 v[32:33], v[2:3], off
	scratch_load_dword v8, off, off offset:132 ; 4-byte Folded Reload
	v_add_u32_e32 v90, s0, v0
	v_ashrrev_i32_e32 v91, 31, v90
	v_lshl_add_u64 v[0:1], v[90:91], 3, s[12:13]
	s_waitcnt vmcnt(0)
	v_add3_u32 v2, v8, v73, s0
	v_ashrrev_i32_e32 v3, 31, v2
	v_lshl_add_u64 v[4:5], v[2:3], 3, s[12:13]
	global_load_dwordx2 v[36:37], v[4:5], off
	scratch_load_dword v14, off, off offset:416 ; 4-byte Folded Reload
	v_add_u32_e32 v92, s0, v2
	v_ashrrev_i32_e32 v93, 31, v92
	s_waitcnt vmcnt(0)
	v_add3_u32 v4, v14, v73, s0
	v_ashrrev_i32_e32 v5, 31, v4
	v_lshl_add_u64 v[6:7], v[4:5], 3, s[12:13]
	global_load_dwordx2 v[100:101], v[6:7], off
	scratch_load_dword v9, off, off offset:136 ; 4-byte Folded Reload
	v_add_u32_e32 v94, s0, v4
	global_load_dwordx2 v[70:71], v[0:1], off
	v_lshl_add_u64 v[0:1], v[92:93], 3, s[12:13]
	v_ashrrev_i32_e32 v95, 31, v94
	global_load_dwordx2 v[34:35], v[0:1], off
	v_lshl_add_u64 v[0:1], v[94:95], 3, s[12:13]
	global_load_dwordx2 v[62:63], v[0:1], off
	v_mov_b32_e32 v26, v14
	s_waitcnt vmcnt(3)
	v_add3_u32 v6, v9, v73, s0
	v_ashrrev_i32_e32 v7, 31, v6
	v_lshl_add_u64 v[10:11], v[6:7], 3, s[12:13]
	global_load_dwordx2 v[12:13], v[10:11], off
	v_add_u32_e32 v98, s0, v6
	v_ashrrev_i32_e32 v99, 31, v98
	v_lshl_add_u64 v[0:1], v[98:99], 3, s[12:13]
	global_load_dwordx2 v[2:3], v[0:1], off
	s_waitcnt vmcnt(3)
	v_add_f64 v[0:1], v[70:71], -v[34:35]
	v_mul_f64 v[0:1], v[0:1], s[2:3]
	v_add_f64 v[10:11], v[32:33], -v[36:37]
	v_mul_f64 v[10:11], v[10:11], s[2:3]
	scratch_load_dword v6, off, off offset:364 ; 4-byte Folded Reload
	s_waitcnt vmcnt(2)
	scratch_store_dwordx2 off, v[12:13], off offset:232 ; 8-byte Folded Spill
	v_add_f64 v[12:13], v[100:101], -v[12:13]
	v_fma_f64 v[10:11], v[12:13], s[4:5], -v[10:11]
	v_mov_b64_e32 v[12:13], v[42:43]
	s_waitcnt vmcnt(2)
	scratch_store_dwordx2 off, v[2:3], off offset:240 ; 8-byte Folded Spill
	v_add_f64 v[2:3], v[62:63], -v[2:3]
	v_fma_f64 v[0:1], v[2:3], s[4:5], -v[0:1]
	scratch_load_dwordx2 v[2:3], off, off offset:492 ; 8-byte Folded Reload
	scratch_load_dwordx4 v[40:43], off, off offset:460 ; 16-byte Folded Reload
	s_waitcnt vmcnt(1)
	v_mul_f64 v[2:3], v[2:3], v[12:13]
	v_mul_f64 v[0:1], v[2:3], v[0:1]
	s_waitcnt vmcnt(0)
	v_mul_f64 v[0:1], v[40:41], v[0:1]
	v_mul_f64 v[44:45], v[52:53], v[0:1]
	v_add3_u32 v0, v65, v6, s0
	v_ashrrev_i32_e32 v1, 31, v0
	v_lshl_add_u64 v[2:3], v[0:1], 3, s[12:13]
	global_load_dwordx2 v[96:97], v[2:3], off
	v_add3_u32 v2, v8, v6, s0
	v_ashrrev_i32_e32 v3, 31, v2
	v_lshl_add_u64 v[4:5], v[2:3], 3, s[12:13]
	global_load_dwordx2 v[28:29], v[4:5], off
	v_add3_u32 v4, v14, v6, s0
	v_ashrrev_i32_e32 v5, 31, v4
	v_mov_b32_e32 v1, v6
	v_lshl_add_u64 v[6:7], v[4:5], 3, s[12:13]
	v_fmac_f64_e32 v[44:45], v[38:39], v[10:11]
	global_load_dwordx2 v[24:25], v[6:7], off
	v_add3_u32 v6, v9, v1, s0
	v_add_u32_e32 v38, s0, v0
	v_ashrrev_i32_e32 v7, 31, v6
	v_ashrrev_i32_e32 v39, 31, v38
	v_add_u32_e32 v64, s0, v2
	v_lshl_add_u64 v[10:11], v[6:7], 3, s[12:13]
	v_lshl_add_u64 v[0:1], v[38:39], 3, s[12:13]
	v_ashrrev_i32_e32 v65, 31, v64
	v_add_u32_e32 v78, s0, v4
	global_load_dwordx2 v[126:127], v[10:11], off
	global_load_dwordx2 v[68:69], v[0:1], off
	v_lshl_add_u64 v[0:1], v[64:65], 3, s[12:13]
	v_ashrrev_i32_e32 v79, 31, v78
	v_add_u32_e32 v106, s0, v6
	global_load_dwordx2 v[82:83], v[0:1], off
	v_lshl_add_u64 v[0:1], v[78:79], 3, s[12:13]
	v_ashrrev_i32_e32 v107, 31, v106
	global_load_dwordx2 v[80:81], v[0:1], off
	v_lshl_add_u64 v[0:1], v[106:107], 3, s[12:13]
	global_load_dwordx2 v[124:125], v[0:1], off
	scratch_load_dword v6, off, off offset:360 ; 4-byte Folded Reload
	s_waitcnt vmcnt(7)
	v_add_f64 v[14:15], v[96:97], -v[28:29]
	v_mul_f64 v[14:15], v[14:15], s[2:3]
	s_waitcnt vmcnt(5)
	v_add_f64 v[16:17], v[24:25], -v[126:127]
	v_fma_f64 v[16:17], v[16:17], s[4:5], -v[14:15]
	s_waitcnt vmcnt(3)
	v_add_f64 v[0:1], v[68:69], -v[82:83]
	v_mul_f64 v[0:1], v[0:1], s[2:3]
	v_add_f64 v[34:35], v[34:35], -v[82:83]
	v_mul_f64 v[34:35], v[34:35], s[2:3]
	s_waitcnt vmcnt(1)
	v_add_f64 v[2:3], v[80:81], -v[124:125]
	v_fma_f64 v[0:1], v[2:3], s[4:5], -v[0:1]
	scratch_load_dwordx2 v[2:3], off, off offset:408 ; 8-byte Folded Reload
	s_waitcnt vmcnt(0)
	v_mul_f64 v[2:3], v[2:3], v[48:49]
	v_mul_f64 v[0:1], v[2:3], v[0:1]
	;; [unrolled: 1-line block ×4, first 2 shown]
	v_add3_u32 v0, v27, v6, s0
	v_fmac_f64_e32 v[18:19], v[60:61], v[16:17]
	v_ashrrev_i32_e32 v1, 31, v0
	v_add_u32_e32 v60, s0, v0
	v_lshl_add_u64 v[2:3], v[0:1], 3, s[12:13]
	v_mov_b32_e32 v1, v6
	v_ashrrev_i32_e32 v61, 31, v60
	v_add3_u32 v20, v9, v1, s0
	v_lshl_add_u64 v[0:1], v[60:61], 3, s[12:13]
	global_load_dwordx2 v[112:113], v[2:3], off
	global_load_dwordx2 v[74:75], v[0:1], off
	v_add3_u32 v2, v8, v6, s0
	v_add_u32_e32 v84, s0, v2
	v_ashrrev_i32_e32 v3, 31, v2
	v_ashrrev_i32_e32 v85, 31, v84
	v_lshl_add_u64 v[4:5], v[2:3], 3, s[12:13]
	v_lshl_add_u64 v[0:1], v[84:85], 3, s[12:13]
	global_load_dwordx2 v[104:105], v[4:5], off
	global_load_dwordx2 v[110:111], v[0:1], off
	v_add3_u32 v4, v26, v6, s0
	v_add_u32_e32 v88, s0, v4
	v_ashrrev_i32_e32 v5, 31, v4
	v_ashrrev_i32_e32 v89, 31, v88
	v_add_u32_e32 v120, s0, v20
	v_lshl_add_u64 v[6:7], v[4:5], 3, s[12:13]
	v_ashrrev_i32_e32 v21, 31, v20
	v_lshl_add_u64 v[0:1], v[88:89], 3, s[12:13]
	v_ashrrev_i32_e32 v121, 31, v120
	global_load_dwordx2 v[86:87], v[6:7], off
	global_load_dwordx2 v[10:11], v[0:1], off
	v_lshl_add_u64 v[6:7], v[20:21], 3, s[12:13]
	v_lshl_add_u64 v[0:1], v[120:121], 3, s[12:13]
	global_load_dwordx2 v[118:119], v[6:7], off
	global_load_dwordx2 v[20:21], v[0:1], off
	s_waitcnt vmcnt(5)
	v_add_f64 v[6:7], v[112:113], -v[104:105]
	s_waitcnt vmcnt(4)
	v_add_f64 v[0:1], v[74:75], -v[110:111]
	v_mul_f64 v[0:1], v[0:1], s[2:3]
	v_mul_f64 v[6:7], v[6:7], s[2:3]
	s_waitcnt vmcnt(1)
	v_add_f64 v[22:23], v[86:87], -v[118:119]
	s_waitcnt vmcnt(0)
	v_add_f64 v[2:3], v[10:11], -v[20:21]
	v_fma_f64 v[0:1], v[2:3], s[4:5], -v[0:1]
	scratch_load_dwordx2 v[2:3], off, off offset:376 ; 8-byte Folded Reload
	v_fma_f64 v[30:31], v[22:23], s[4:5], -v[6:7]
	scratch_load_dword v6, off, off offset:296 ; 4-byte Folded Reload
	s_waitcnt vmcnt(1)
	v_mul_f64 v[2:3], v[2:3], v[50:51]
	v_mul_f64 v[0:1], v[2:3], v[0:1]
	;; [unrolled: 1-line block ×4, first 2 shown]
	s_waitcnt vmcnt(0)
	v_add3_u32 v0, v27, v6, s0
	v_ashrrev_i32_e32 v1, 31, v0
	v_lshl_add_u64 v[2:3], v[0:1], 3, s[12:13]
	global_load_dwordx2 v[116:117], v[2:3], off
	v_add3_u32 v2, v8, v6, s0
	v_ashrrev_i32_e32 v3, 31, v2
	v_lshl_add_u64 v[4:5], v[2:3], 3, s[12:13]
	global_load_dwordx2 v[76:77], v[4:5], off
	v_add3_u32 v4, v26, v6, s0
	v_fmac_f64_e32 v[22:23], v[102:103], v[30:31]
	v_ashrrev_i32_e32 v5, 31, v4
	v_add3_u32 v30, v9, v6, s0
	v_lshl_add_u64 v[26:27], v[4:5], 3, s[12:13]
	v_ashrrev_i32_e32 v31, 31, v30
	global_load_dwordx2 v[72:73], v[26:27], off
	v_lshl_add_u64 v[26:27], v[30:31], 3, s[12:13]
	global_load_dwordx2 v[26:27], v[26:27], off
	v_add_u32_e32 v122, s0, v2
	v_ashrrev_i32_e32 v123, 31, v122
	v_add_u32_e32 v4, s0, v4
	v_lshl_add_u64 v[2:3], v[122:123], 3, s[12:13]
	v_ashrrev_i32_e32 v5, 31, v4
	global_load_dwordx2 v[2:3], v[2:3], off
	v_lshl_add_u64 v[8:9], v[4:5], 3, s[12:13]
	global_load_dwordx2 v[8:9], v[8:9], off
	v_add_u32_e32 v4, s0, v4
	s_waitcnt vmcnt(4)
	v_add_f64 v[102:103], v[116:117], -v[76:77]
	v_mul_f64 v[102:103], v[102:103], s[2:3]
	s_waitcnt vmcnt(2)
	v_add_f64 v[108:109], v[72:73], -v[26:27]
	v_fma_f64 v[6:7], v[108:109], s[4:5], -v[102:103]
	v_add_u32_e32 v102, s0, v0
	v_ashrrev_i32_e32 v103, 31, v102
	v_add_u32_e32 v108, s0, v30
	v_lshl_add_u64 v[0:1], v[102:103], 3, s[12:13]
	v_ashrrev_i32_e32 v109, 31, v108
	global_load_dwordx2 v[0:1], v[0:1], off
	v_lshl_add_u64 v[30:31], v[108:109], 3, s[12:13]
	global_load_dwordx2 v[30:31], v[30:31], off
	s_nop 0
	scratch_load_dwordx2 v[16:17], off, off offset:452 ; 8-byte Folded Reload
	scratch_load_dwordx2 v[14:15], off, off offset:308 ; 8-byte Folded Reload
	scratch_load_dword v5, off, off offset:220 ; 4-byte Folded Reload
	s_waitcnt vmcnt(4)
	v_add_f64 v[114:115], v[0:1], -v[2:3]
	v_mul_f64 v[114:115], v[114:115], s[2:3]
	s_waitcnt vmcnt(3)
	v_add_f64 v[50:51], v[8:9], -v[30:31]
	v_fma_f64 v[50:51], v[50:51], s[4:5], -v[114:115]
	s_waitcnt vmcnt(1)
	v_mul_f64 v[114:115], v[14:15], v[16:17]
	scratch_load_dwordx2 v[14:15], off, off offset:444 ; 8-byte Folded Reload
	v_mul_f64 v[50:51], v[114:115], v[50:51]
	v_mul_f64 v[50:51], v[40:41], v[50:51]
	;; [unrolled: 1-line block ×3, first 2 shown]
	v_add_f64 v[50:51], v[70:71], -v[68:69]
	v_add_f64 v[0:1], v[74:75], -v[0:1]
	v_mul_f64 v[50:51], v[50:51], s[2:3]
	v_fma_f64 v[0:1], v[0:1], s[4:5], -v[50:51]
	v_add_f64 v[2:3], v[110:111], -v[2:3]
	v_fma_f64 v[2:3], v[2:3], s[4:5], -v[34:35]
	s_waitcnt vmcnt(0)
	v_fmac_f64_e32 v[114:115], v[14:15], v[6:7]
	v_add_f64 v[6:7], v[32:33], -v[96:97]
	v_add_u32_e32 v96, s1, v5
	v_add_f64 v[32:33], v[112:113], -v[116:117]
	v_mul_f64 v[6:7], v[6:7], s[2:3]
	v_ashrrev_i32_e32 v97, 31, v96
	v_fma_f64 v[6:7], v[32:33], s[4:5], -v[6:7]
	v_lshl_add_u64 v[32:33], v[96:97], 3, s[18:19]
	global_load_dwordx2 v[32:33], v[32:33], off
	s_nop 0
	scratch_load_dwordx2 v[14:15], off, off offset:212 ; 8-byte Folded Reload
	s_waitcnt vmcnt(0)
	v_mul_f64 v[32:33], v[14:15], v[32:33]
	scratch_load_dwordx2 v[14:15], off, off offset:64 ; 8-byte Folded Reload
	s_waitcnt vmcnt(0)
	v_mul_f64 v[32:33], v[14:15], v[32:33]
	v_mul_f64 v[0:1], v[0:1], v[32:33]
	scratch_load_dwordx2 v[32:33], off, off offset:224 ; 8-byte Folded Reload
	s_waitcnt vmcnt(0)
	v_mul_f64 v[0:1], v[32:33], v[0:1]
	scratch_load_dwordx2 v[32:33], off, off offset:204 ; 8-byte Folded Reload
	s_waitcnt vmcnt(0)
	v_lshl_add_u64 v[32:33], s[18:19], 0, v[32:33]
	global_load_dwordx2 v[32:33], v[32:33], off
	s_nop 0
	scratch_load_dwordx2 v[116:117], off, off offset:32 ; 8-byte Folded Reload
	scratch_load_dword v5, off, off offset:184 ; 4-byte Folded Reload
	s_waitcnt vmcnt(1)
	v_mul_f64 v[32:33], v[116:117], v[32:33]
	v_mul_f64 v[50:51], v[14:15], v[32:33]
	v_mul_f64 v[32:33], v[52:53], v[0:1]
	v_add_f64 v[0:1], v[36:37], -v[28:29]
	s_waitcnt vmcnt(0)
	v_add_u32_e32 v28, s1, v5
	v_fmac_f64_e32 v[32:33], v[6:7], v[50:51]
	v_add_f64 v[6:7], v[104:105], -v[76:77]
	v_mul_f64 v[0:1], v[0:1], s[2:3]
	v_ashrrev_i32_e32 v29, 31, v28
	v_fma_f64 v[0:1], v[6:7], s[4:5], -v[0:1]
	v_lshl_add_u64 v[6:7], v[28:29], 3, s[18:19]
	global_load_dwordx2 v[6:7], v[6:7], off
	s_nop 0
	scratch_load_dwordx2 v[36:37], off, off offset:108 ; 8-byte Folded Reload
	scratch_load_dwordx2 v[104:105], off, off offset:40 ; 8-byte Folded Reload
	v_ashrrev_i32_e32 v5, 31, v4
	v_lshl_add_u64 v[4:5], v[4:5], 3, s[12:13]
	s_waitcnt vmcnt(1)
	v_mul_f64 v[6:7], v[36:37], v[6:7]
	s_waitcnt vmcnt(0)
	v_mul_f64 v[6:7], v[104:105], v[6:7]
	v_mul_f64 v[2:3], v[2:3], v[6:7]
	scratch_load_dwordx2 v[6:7], off, off offset:168 ; 8-byte Folded Reload
	v_add_u32_e32 v36, s0, v106
	v_ashrrev_i32_e32 v37, 31, v36
	v_lshl_add_u64 v[36:37], v[36:37], 3, s[12:13]
	s_waitcnt vmcnt(0)
	v_lshl_add_u64 v[6:7], s[18:19], 0, v[6:7]
	global_load_dwordx2 v[6:7], v[6:7], off
	s_nop 0
	scratch_load_dwordx2 v[76:77], off, off offset:8 ; 8-byte Folded Reload
	scratch_load_dwordx4 v[110:113], off, off offset:152 ; 16-byte Folded Reload
	s_waitcnt vmcnt(1)
	v_mul_f64 v[6:7], v[76:77], v[6:7]
	s_waitcnt vmcnt(0)
	v_mul_f64 v[2:3], v[110:111], v[2:3]
	v_mul_f64 v[6:7], v[104:105], v[6:7]
	;; [unrolled: 1-line block ×3, first 2 shown]
	v_fmac_f64_e32 v[34:35], v[0:1], v[6:7]
	scratch_load_dword v0, off, off offset:140 ; 4-byte Folded Reload
	v_add_f64 v[6:7], v[10:11], -v[8:9]
	s_waitcnt vmcnt(0)
	v_add_u32_e32 v82, s1, v0
	v_ashrrev_i32_e32 v83, 31, v82
	v_lshl_add_u64 v[0:1], v[82:83], 3, s[18:19]
	global_load_dwordx2 v[0:1], v[0:1], off
	s_nop 0
	scratch_load_dwordx2 v[2:3], off, off offset:144 ; 8-byte Folded Reload
	scratch_load_dwordx2 v[10:11], off, off offset:48 ; 8-byte Folded Reload
	s_waitcnt vmcnt(1)
	v_mul_f64 v[0:1], v[2:3], v[0:1]
	v_add_f64 v[2:3], v[62:63], -v[80:81]
	v_mul_f64 v[2:3], v[2:3], s[2:3]
	v_fma_f64 v[2:3], v[6:7], s[4:5], -v[2:3]
	s_waitcnt vmcnt(0)
	v_mul_f64 v[0:1], v[10:11], v[0:1]
	v_mul_f64 v[0:1], v[2:3], v[0:1]
	v_add_f64 v[2:3], v[100:101], -v[24:25]
	v_add_f64 v[6:7], v[86:87], -v[72:73]
	v_mul_f64 v[2:3], v[2:3], s[2:3]
	v_fma_f64 v[2:3], v[6:7], s[4:5], -v[2:3]
	scratch_load_dwordx2 v[6:7], off, off offset:196 ; 8-byte Folded Reload
	v_mul_f64 v[0:1], v[42:43], v[0:1]
	v_mov_b64_e32 v[100:101], v[10:11]
	v_add_u32_e32 v24, s0, v98
	v_ashrrev_i32_e32 v25, 31, v24
	v_lshl_add_u64 v[24:25], v[24:25], 3, s[12:13]
	s_waitcnt vmcnt(0)
	v_lshl_add_u64 v[6:7], s[18:19], 0, v[6:7]
	global_load_dwordx2 v[6:7], v[6:7], off
	s_nop 0
	scratch_load_dwordx2 v[80:81], off, off offset:24 ; 8-byte Folded Reload
	s_waitcnt vmcnt(0)
	v_mul_f64 v[6:7], v[80:81], v[6:7]
	v_mul_f64 v[8:9], v[10:11], v[6:7]
	;; [unrolled: 1-line block ×3, first 2 shown]
	scratch_load_dwordx2 v[0:1], off, off offset:300 ; 8-byte Folded Reload
	v_fmac_f64_e32 v[6:7], v[2:3], v[8:9]
	scratch_load_dwordx2 v[2:3], off, off offset:324 ; 8-byte Folded Reload
	scratch_load_dwordx2 v[8:9], off, off offset:340 ; 8-byte Folded Reload
	s_waitcnt vmcnt(2)
	v_fmac_f64_e32 v[56:57], v[52:53], v[0:1]
	scratch_load_dwordx2 v[0:1], off, off offset:316 ; 8-byte Folded Reload
	s_waitcnt vmcnt(0)
	v_mul_f64 v[0:1], v[0:1], s[2:3]
	v_fma_f64 v[0:1], v[2:3], s[4:5], -v[0:1]
	scratch_load_dwordx2 v[2:3], off, off offset:332 ; 8-byte Folded Reload
	v_add_f64 v[0:1], v[56:57], v[0:1]
	s_waitcnt vmcnt(0)
	v_mul_f64 v[2:3], v[2:3], s[2:3]
	v_fma_f64 v[2:3], v[8:9], s[4:5], -v[2:3]
	v_add_f64 v[0:1], v[2:3], v[0:1]
	scratch_load_dwordx2 v[2:3], off, off offset:368 ; 8-byte Folded Reload
	scratch_load_dwordx2 v[8:9], off, off offset:384 ; 8-byte Folded Reload
	s_waitcnt vmcnt(0)
	v_add_f64 v[2:3], v[2:3], -v[8:9]
	scratch_load_dwordx2 v[8:9], off, off offset:392 ; 8-byte Folded Reload
	scratch_load_dwordx2 v[10:11], off, off offset:400 ; 8-byte Folded Reload
	v_mul_f64 v[2:3], v[2:3], s[2:3]
	s_waitcnt vmcnt(0)
	v_add_f64 v[8:9], v[8:9], -v[10:11]
	v_fma_f64 v[2:3], v[8:9], s[4:5], -v[2:3]
	v_add_f64 v[0:1], v[0:1], v[2:3]
	v_add_f64 v[2:3], v[46:47], -v[66:67]
	v_add_f64 v[8:9], v[54:55], -v[58:59]
	v_mul_f64 v[2:3], v[2:3], s[2:3]
	v_fma_f64 v[2:3], v[8:9], s[4:5], -v[2:3]
	v_add_f64 v[46:47], v[0:1], v[2:3]
	scratch_load_dwordx2 v[0:1], off, off offset:288 ; 8-byte Folded Reload
	scratch_load_dwordx2 v[2:3], off, off offset:352 ; 8-byte Folded Reload
	v_add_u32_e32 v8, s0, v92
	v_ashrrev_i32_e32 v9, 31, v8
	v_add_u32_e32 v10, s0, v94
	v_lshl_add_u64 v[8:9], v[8:9], 3, s[12:13]
	v_ashrrev_i32_e32 v11, 31, v10
	v_lshl_add_u64 v[10:11], v[10:11], 3, s[12:13]
	s_waitcnt vmcnt(0)
	v_mul_f64 v[0:1], v[2:3], v[0:1]
	v_add_u32_e32 v2, s0, v90
	v_ashrrev_i32_e32 v3, 31, v2
	v_lshl_add_u64 v[2:3], v[2:3], 3, s[12:13]
	global_load_dwordx2 v[50:51], v[2:3], off
	global_load_dwordx2 v[86:87], v[8:9], off
	global_load_dwordx2 v[40:41], v[10:11], off
	s_nop 0
	global_load_dwordx2 v[8:9], v[24:25], off
	v_mul_f64 v[0:1], v[0:1], v[12:13]
	v_add_u32_e32 v24, s0, v78
	v_ashrrev_i32_e32 v25, 31, v24
	v_lshl_add_u64 v[24:25], v[24:25], 3, s[12:13]
	s_waitcnt vmcnt(2)
	v_add_f64 v[2:3], v[50:51], -v[86:87]
	v_mul_f64 v[2:3], v[2:3], s[2:3]
	s_waitcnt vmcnt(0)
	v_add_f64 v[10:11], v[40:41], -v[8:9]
	v_fma_f64 v[2:3], v[10:11], s[4:5], -v[2:3]
	v_mul_f64 v[0:1], v[0:1], v[2:3]
	v_fmac_f64_e32 v[44:45], v[52:53], v[0:1]
	scratch_load_dwordx2 v[0:1], off, off offset:280 ; 8-byte Folded Reload
	scratch_load_dwordx2 v[2:3], off, off offset:56 ; 8-byte Folded Reload
	v_add_u32_e32 v10, s0, v64
	v_ashrrev_i32_e32 v11, 31, v10
	v_lshl_add_u64 v[10:11], v[10:11], 3, s[12:13]
	s_waitcnt vmcnt(0)
	v_mul_f64 v[0:1], v[2:3], v[0:1]
	v_add_u32_e32 v2, s0, v38
	v_ashrrev_i32_e32 v3, 31, v2
	v_lshl_add_u64 v[2:3], v[2:3], 3, s[12:13]
	global_load_dwordx2 v[58:59], v[2:3], off
	global_load_dwordx2 v[54:55], v[10:11], off
	;; [unrolled: 1-line block ×4, first 2 shown]
	v_mul_f64 v[64:65], v[0:1], v[48:49]
	v_add_u32_e32 v10, s0, v88
	v_add_u32_e32 v24, s0, v120
	v_ashrrev_i32_e32 v11, 31, v10
	v_ashrrev_i32_e32 v25, 31, v24
	v_lshl_add_u64 v[10:11], v[10:11], 3, s[12:13]
	v_lshl_add_u64 v[24:25], v[24:25], 3, s[12:13]
	s_waitcnt vmcnt(2)
	v_add_f64 v[0:1], v[58:59], -v[54:55]
	v_mul_f64 v[0:1], v[0:1], s[2:3]
	s_waitcnt vmcnt(0)
	v_add_f64 v[2:3], v[78:79], -v[38:39]
	v_fma_f64 v[74:75], v[2:3], s[4:5], -v[0:1]
	v_add_u32_e32 v0, s0, v60
	v_ashrrev_i32_e32 v1, 31, v0
	v_add_u32_e32 v2, s0, v84
	v_lshl_add_u64 v[0:1], v[0:1], 3, s[12:13]
	v_ashrrev_i32_e32 v3, 31, v2
	v_lshl_add_u64 v[2:3], v[2:3], 3, s[12:13]
	global_load_dwordx2 v[66:67], v[0:1], off
	global_load_dwordx2 v[62:63], v[2:3], off
	;; [unrolled: 1-line block ×4, first 2 shown]
	v_add_u32_e32 v0, s0, v102
	v_ashrrev_i32_e32 v1, 31, v0
	v_add_u32_e32 v2, s0, v122
	v_add_u32_e32 v10, s0, v108
	v_lshl_add_u64 v[0:1], v[0:1], 3, s[12:13]
	v_ashrrev_i32_e32 v3, 31, v2
	v_ashrrev_i32_e32 v11, 31, v10
	v_lshl_add_u64 v[2:3], v[2:3], 3, s[12:13]
	v_lshl_add_u64 v[10:11], v[10:11], 3, s[12:13]
	global_load_dwordx2 v[90:91], v[0:1], off
	global_load_dwordx2 v[88:89], v[2:3], off
	;; [unrolled: 1-line block ×4, first 2 shown]
	v_add_u32_e32 v0, s0, v96
	v_ashrrev_i32_e32 v1, 31, v0
	v_lshl_add_u64 v[0:1], v[0:1], 3, s[18:19]
	global_load_dwordx2 v[24:25], v[0:1], off
	v_add_u32_e32 v0, s0, v28
	v_ashrrev_i32_e32 v1, 31, v0
	v_lshl_add_u64 v[0:1], v[0:1], 3, s[18:19]
	global_load_dwordx2 v[28:29], v[0:1], off
	v_add_u32_e32 v0, s0, v82
	v_ashrrev_i32_e32 v1, 31, v0
	v_lshl_add_u64 v[0:1], v[0:1], 3, s[18:19]
	v_mul_f64 v[4:5], v[64:65], v[74:75]
	global_load_dwordx2 v[0:1], v[0:1], off
	s_nop 0
	scratch_load_dwordx2 v[2:3], off, off offset:92 ; 8-byte Folded Reload
	v_fmac_f64_e32 v[18:19], v[52:53], v[4:5]
	scratch_load_dword v4, off, off offset:88 ; 4-byte Folded Reload
	v_add_f64 v[12:13], v[44:45], -v[18:19]
	scratch_load_dwordx2 v[18:19], off, off offset:100 ; 8-byte Folded Reload
	v_mul_f64 v[12:13], v[12:13], s[2:3]
	s_waitcnt vmcnt(10)
	v_add_f64 v[70:71], v[60:61], -v[42:43]
	s_waitcnt vmcnt(3)
	v_mul_f64 v[0:1], v[80:81], v[0:1]
	s_waitcnt vmcnt(2)
	v_lshl_add_u64 v[2:3], s[18:19], 0, v[2:3]
	global_load_dwordx2 v[2:3], v[2:3], off
	s_waitcnt vmcnt(2)
	v_add_u32_e32 v4, s1, v4
	v_ashrrev_i32_e32 v5, 31, v4
	v_lshl_add_u64 v[10:11], v[4:5], 3, s[18:19]
	v_add_u32_e32 v4, s0, v4
	v_ashrrev_i32_e32 v5, 31, v4
	v_lshl_add_u64 v[4:5], v[4:5], 3, s[18:19]
	s_waitcnt vmcnt(1)
	v_lshl_add_u64 v[18:19], s[26:27], 0, v[18:19]
	global_load_dwordx2 v[10:11], v[10:11], off
	v_mul_f64 v[0:1], v[100:101], v[0:1]
	global_load_dwordx2 v[4:5], v[4:5], off
	s_nop 0
	global_load_dwordx2 v[36:37], v[18:19], off
	scratch_load_dwordx2 v[64:65], off, off offset:124 ; 8-byte Folded Reload
	scratch_load_dwordx2 v[68:69], off, off offset:176 ; 8-byte Folded Reload
	;; [unrolled: 1-line block ×3, first 2 shown]
	s_waitcnt vmcnt(1)
	v_mul_f64 v[64:65], v[68:69], v[64:65]
	v_add_f64 v[68:69], v[66:67], -v[62:63]
	v_mul_f64 v[68:69], v[68:69], s[2:3]
	s_waitcnt vmcnt(0)
	v_mul_f64 v[64:65], v[64:65], v[44:45]
	v_fma_f64 v[68:69], v[70:71], s[4:5], -v[68:69]
	v_mul_f64 v[64:65], v[64:65], v[68:69]
	v_fmac_f64_e32 v[22:23], v[52:53], v[64:65]
	scratch_load_dwordx2 v[64:65], off, off offset:116 ; 8-byte Folded Reload
	scratch_load_dwordx2 v[68:69], off, off offset:188 ; 8-byte Folded Reload
	v_add_f64 v[70:71], v[72:73], -v[56:57]
	s_waitcnt vmcnt(0)
	v_mul_f64 v[64:65], v[68:69], v[64:65]
	v_add_f64 v[68:69], v[90:91], -v[88:89]
	v_mul_f64 v[68:69], v[68:69], s[2:3]
	v_mul_f64 v[64:65], v[64:65], v[16:17]
	v_fma_f64 v[68:69], v[70:71], s[4:5], -v[68:69]
	v_mul_f64 v[64:65], v[64:65], v[68:69]
	v_fmac_f64_e32 v[114:115], v[52:53], v[64:65]
	v_add_f64 v[22:23], v[22:23], -v[114:115]
	v_fma_f64 v[12:13], v[22:23], s[4:5], -v[12:13]
	v_mul_f64 v[22:23], v[116:117], v[24:25]
	v_add_f64 v[24:25], v[50:51], -v[58:59]
	v_add_f64 v[12:13], v[46:47], v[12:13]
	v_add_f64 v[46:47], v[66:67], -v[90:91]
	v_mul_f64 v[24:25], v[24:25], s[2:3]
	v_mul_f64 v[22:23], v[14:15], v[22:23]
	v_fma_f64 v[24:25], v[46:47], s[4:5], -v[24:25]
	v_mul_f64 v[22:23], v[24:25], v[22:23]
	v_add_f64 v[24:25], v[86:87], -v[54:55]
	v_fmac_f64_e32 v[32:33], v[52:53], v[22:23]
	v_mul_f64 v[22:23], v[76:77], v[28:29]
	v_add_f64 v[28:29], v[62:63], -v[88:89]
	v_mul_f64 v[24:25], v[24:25], s[2:3]
	v_mul_f64 v[22:23], v[104:105], v[22:23]
	v_fma_f64 v[24:25], v[28:29], s[4:5], -v[24:25]
	v_mul_f64 v[22:23], v[24:25], v[22:23]
	v_add_f64 v[24:25], v[40:41], -v[78:79]
	v_add_f64 v[28:29], v[60:61], -v[72:73]
	v_mul_f64 v[24:25], v[24:25], s[2:3]
	v_fma_f64 v[24:25], v[28:29], s[4:5], -v[24:25]
	v_mul_f64 v[0:1], v[24:25], v[0:1]
	scratch_load_dwordx2 v[24:25], off, off ; 8-byte Folded Reload
	scratch_load_dwordx2 v[14:15], off, off offset:16 ; 8-byte Folded Reload
	v_fmac_f64_e32 v[6:7], v[52:53], v[0:1]
	v_add_f64 v[16:17], v[118:119], -v[26:27]
	v_fmac_f64_e32 v[34:35], v[52:53], v[22:23]
	v_add_f64 v[22:23], v[32:33], -v[34:35]
	v_mul_f64 v[22:23], v[22:23], s[2:3]
	s_waitcnt vmcnt(1)
	v_mul_f64 v[0:1], v[24:25], v[2:3]
	scratch_load_dwordx2 v[2:3], off, off offset:232 ; 8-byte Folded Reload
	s_waitcnt vmcnt(1)
	v_mul_f64 v[0:1], v[14:15], v[0:1]
	v_mov_b64_e32 v[26:27], v[14:15]
	s_waitcnt vmcnt(0)
	v_add_f64 v[2:3], v[2:3], -v[126:127]
	v_mul_f64 v[2:3], v[2:3], s[2:3]
	v_fma_f64 v[2:3], v[16:17], s[4:5], -v[2:3]
	scratch_load_dwordx2 v[16:17], off, off offset:80 ; 8-byte Folded Reload
	s_waitcnt vmcnt(0)
	v_mul_f64 v[10:11], v[16:17], v[10:11]
	v_mul_f64 v[10:11], v[14:15], v[10:11]
	scratch_load_dwordx2 v[14:15], off, off offset:240 ; 8-byte Folded Reload
	v_add_f64 v[16:17], v[20:21], -v[30:31]
	s_waitcnt vmcnt(0)
	v_add_f64 v[14:15], v[14:15], -v[124:125]
	v_mul_f64 v[14:15], v[14:15], s[2:3]
	v_fma_f64 v[14:15], v[16:17], s[4:5], -v[14:15]
	v_mul_f64 v[10:11], v[14:15], v[10:11]
	v_mul_f64 v[10:11], v[112:113], v[10:11]
	;; [unrolled: 1-line block ×3, first 2 shown]
	v_fmac_f64_e32 v[10:11], v[2:3], v[0:1]
	v_add_f64 v[2:3], v[8:9], -v[38:39]
	v_mul_f64 v[0:1], v[24:25], v[4:5]
	v_mul_f64 v[2:3], v[2:3], s[2:3]
	v_add_f64 v[4:5], v[42:43], -v[56:57]
	v_mul_f64 v[0:1], v[26:27], v[0:1]
	v_fma_f64 v[2:3], v[4:5], s[4:5], -v[2:3]
	v_mul_f64 v[0:1], v[2:3], v[0:1]
	scratch_load_dwordx2 v[2:3], off, off offset:72 ; 8-byte Folded Reload
	v_fmac_f64_e32 v[10:11], v[52:53], v[0:1]
	v_add_f64 v[0:1], v[6:7], -v[10:11]
	v_fma_f64 v[0:1], v[0:1], s[4:5], -v[22:23]
	v_add_f64 v[0:1], v[12:13], v[0:1]
	v_mul_f64 v[0:1], s[10:11], v[0:1]
	s_waitcnt vmcnt(0)
	v_mul_f64 v[0:1], v[2:3], v[0:1]
	v_fmac_f64_e32 v[0:1], s[8:9], v[36:37]
	global_store_dwordx2 v[18:19], v[0:1], off
.LBB2_2:
	s_endpgm
	.section	.rodata,"a",@progbits
	.p2align	6, 0x0
	.amdhsa_kernel _Z7kernel3iiiiiiiiiiiiddPKdS0_S0_S0_S0_PdS0_S0_S0_S0_S0_S0_S0_
		.amdhsa_group_segment_fixed_size 0
		.amdhsa_private_segment_fixed_size 664
		.amdhsa_kernarg_size 424
		.amdhsa_user_sgpr_count 2
		.amdhsa_user_sgpr_dispatch_ptr 0
		.amdhsa_user_sgpr_queue_ptr 0
		.amdhsa_user_sgpr_kernarg_segment_ptr 1
		.amdhsa_user_sgpr_dispatch_id 0
		.amdhsa_user_sgpr_kernarg_preload_length 0
		.amdhsa_user_sgpr_kernarg_preload_offset 0
		.amdhsa_user_sgpr_private_segment_size 0
		.amdhsa_uses_dynamic_stack 0
		.amdhsa_enable_private_segment 1
		.amdhsa_system_sgpr_workgroup_id_x 1
		.amdhsa_system_sgpr_workgroup_id_y 1
		.amdhsa_system_sgpr_workgroup_id_z 1
		.amdhsa_system_sgpr_workgroup_info 0
		.amdhsa_system_vgpr_workitem_id 2
		.amdhsa_next_free_vgpr 128
		.amdhsa_next_free_sgpr 28
		.amdhsa_accum_offset 128
		.amdhsa_reserve_vcc 1
		.amdhsa_float_round_mode_32 0
		.amdhsa_float_round_mode_16_64 0
		.amdhsa_float_denorm_mode_32 3
		.amdhsa_float_denorm_mode_16_64 3
		.amdhsa_dx10_clamp 1
		.amdhsa_ieee_mode 1
		.amdhsa_fp16_overflow 0
		.amdhsa_tg_split 0
		.amdhsa_exception_fp_ieee_invalid_op 0
		.amdhsa_exception_fp_denorm_src 0
		.amdhsa_exception_fp_ieee_div_zero 0
		.amdhsa_exception_fp_ieee_overflow 0
		.amdhsa_exception_fp_ieee_underflow 0
		.amdhsa_exception_fp_ieee_inexact 0
		.amdhsa_exception_int_div_zero 0
	.end_amdhsa_kernel
	.text
.Lfunc_end2:
	.size	_Z7kernel3iiiiiiiiiiiiddPKdS0_S0_S0_S0_PdS0_S0_S0_S0_S0_S0_S0_, .Lfunc_end2-_Z7kernel3iiiiiiiiiiiiddPKdS0_S0_S0_S0_PdS0_S0_S0_S0_S0_S0_S0_
                                        ; -- End function
	.set _Z7kernel3iiiiiiiiiiiiddPKdS0_S0_S0_S0_PdS0_S0_S0_S0_S0_S0_S0_.num_vgpr, 128
	.set _Z7kernel3iiiiiiiiiiiiddPKdS0_S0_S0_S0_PdS0_S0_S0_S0_S0_S0_S0_.num_agpr, 0
	.set _Z7kernel3iiiiiiiiiiiiddPKdS0_S0_S0_S0_PdS0_S0_S0_S0_S0_S0_S0_.numbered_sgpr, 28
	.set _Z7kernel3iiiiiiiiiiiiddPKdS0_S0_S0_S0_PdS0_S0_S0_S0_S0_S0_S0_.num_named_barrier, 0
	.set _Z7kernel3iiiiiiiiiiiiddPKdS0_S0_S0_S0_PdS0_S0_S0_S0_S0_S0_S0_.private_seg_size, 664
	.set _Z7kernel3iiiiiiiiiiiiddPKdS0_S0_S0_S0_PdS0_S0_S0_S0_S0_S0_S0_.uses_vcc, 1
	.set _Z7kernel3iiiiiiiiiiiiddPKdS0_S0_S0_S0_PdS0_S0_S0_S0_S0_S0_S0_.uses_flat_scratch, 0
	.set _Z7kernel3iiiiiiiiiiiiddPKdS0_S0_S0_S0_PdS0_S0_S0_S0_S0_S0_S0_.has_dyn_sized_stack, 0
	.set _Z7kernel3iiiiiiiiiiiiddPKdS0_S0_S0_S0_PdS0_S0_S0_S0_S0_S0_S0_.has_recursion, 0
	.set _Z7kernel3iiiiiiiiiiiiddPKdS0_S0_S0_S0_PdS0_S0_S0_S0_S0_S0_S0_.has_indirect_call, 0
	.section	.AMDGPU.csdata,"",@progbits
; Kernel info:
; codeLenInByte = 11624
; TotalNumSgprs: 34
; NumVgprs: 128
; NumAgprs: 0
; TotalNumVgprs: 128
; ScratchSize: 664
; MemoryBound: 0
; FloatMode: 240
; IeeeMode: 1
; LDSByteSize: 0 bytes/workgroup (compile time only)
; SGPRBlocks: 4
; VGPRBlocks: 15
; NumSGPRsForWavesPerEU: 34
; NumVGPRsForWavesPerEU: 128
; AccumOffset: 128
; Occupancy: 4
; WaveLimiterHint : 0
; COMPUTE_PGM_RSRC2:SCRATCH_EN: 1
; COMPUTE_PGM_RSRC2:USER_SGPR: 2
; COMPUTE_PGM_RSRC2:TRAP_HANDLER: 0
; COMPUTE_PGM_RSRC2:TGID_X_EN: 1
; COMPUTE_PGM_RSRC2:TGID_Y_EN: 1
; COMPUTE_PGM_RSRC2:TGID_Z_EN: 1
; COMPUTE_PGM_RSRC2:TIDIG_COMP_CNT: 2
; COMPUTE_PGM_RSRC3_GFX90A:ACCUM_OFFSET: 31
; COMPUTE_PGM_RSRC3_GFX90A:TG_SPLIT: 0
	.text
	.protected	_Z7kernel4iiiiiiiiiiiiddPKdS0_S0_S0_S0_PdS0_S0_S0_S0_S0_S0_S0_ ; -- Begin function _Z7kernel4iiiiiiiiiiiiddPKdS0_S0_S0_S0_PdS0_S0_S0_S0_S0_S0_S0_
	.globl	_Z7kernel4iiiiiiiiiiiiddPKdS0_S0_S0_S0_PdS0_S0_S0_S0_S0_S0_S0_
	.p2align	8
	.type	_Z7kernel4iiiiiiiiiiiiddPKdS0_S0_S0_S0_PdS0_S0_S0_S0_S0_S0_S0_,@function
_Z7kernel4iiiiiiiiiiiiddPKdS0_S0_S0_S0_PdS0_S0_S0_S0_S0_S0_S0_: ; @_Z7kernel4iiiiiiiiiiiiddPKdS0_S0_S0_S0_PdS0_S0_S0_S0_S0_S0_S0_
; %bb.0:
	s_load_dwordx2 s[6:7], s[0:1], 0xb4
	s_load_dwordx8 s[16:23], s[0:1], 0x0
	v_and_b32_e32 v1, 0x3ff, v0
	s_waitcnt lgkmcnt(0)
	s_and_b32 s5, s7, 0xffff
	s_lshr_b32 s7, s6, 16
	s_and_b32 s6, s6, 0xffff
	s_mul_i32 s2, s2, s6
	s_add_i32 s2, s2, s16
	v_add_u32_e32 v10, s2, v1
	s_mul_i32 s2, s3, s7
	s_add_i32 s2, s2, s18
	v_bfe_u32 v1, v0, 10, 10
	v_add_u32_e32 v31, s2, v1
	s_mul_i32 s2, s4, s5
	s_add_i32 s2, s2, s20
	v_bfe_u32 v0, v0, 20, 10
	v_add_u32_e32 v14, s2, v0
	v_cmp_gt_i32_e32 vcc, s17, v10
	v_cmp_gt_i32_e64 s[2:3], s19, v31
	s_and_b64 s[2:3], vcc, s[2:3]
	v_cmp_gt_i32_e32 vcc, s21, v14
	s_and_b64 s[2:3], s[2:3], vcc
	s_and_saveexec_b64 s[4:5], s[2:3]
	s_cbranch_execz .LBB3_2
; %bb.1:
	s_load_dwordx4 s[28:31], s[0:1], 0x98
	s_load_dwordx4 s[24:27], s[0:1], 0x60
	s_load_dwordx8 s[12:19], s[0:1], 0x40
	s_load_dwordx8 s[4:11], s[0:1], 0x20
	s_sub_i32 s1, s23, s22
	s_not_b32 s0, s1
	s_add_i32 s1, s1, 1
	v_mul_lo_u32 v8, v31, s1
	s_waitcnt lgkmcnt(0)
	s_mul_i32 s2, s4, s0
	s_sub_i32 s0, s5, s4
	s_add_i32 s0, s0, 1
	s_mul_i32 s0, s0, s1
	s_mul_i32 s3, s0, s6
	s_add_i32 s3, s22, s3
	s_sub_i32 s2, s2, s3
	s_sub_i32 s3, s7, s6
	v_subrev_u32_e32 v2, s4, v31
	s_add_i32 s4, s3, 1
	v_mul_lo_u32 v40, v14, s0
	s_mul_i32 s4, s4, s0
	v_add_u32_e32 v41, s2, v10
	v_add_u32_e32 v9, -2, v10
	v_add3_u32 v11, v40, v8, s2
	s_sub_i32 s2, s2, s4
	v_subrev_u32_e32 v0, s22, v10
	v_add_u32_e32 v4, v11, v9
	v_add_u32_e32 v16, s2, v8
	v_ashrrev_i32_e32 v1, 31, v0
	v_ashrrev_i32_e32 v5, 31, v4
	v_add_u32_e32 v56, v16, v9
	v_lshl_add_u64 v[0:1], v[0:1], 3, s[28:29]
	v_lshl_add_u64 v[4:5], v[4:5], 3, s[14:15]
	v_add_u32_e32 v61, v56, v40
	global_load_dwordx4 v[46:49], v[0:1], off
	global_load_dwordx4 v[96:99], v[0:1], off offset:-16
	global_load_dwordx2 v[38:39], v[4:5], off
	v_add_u32_e32 v4, s4, v61
	v_ashrrev_i32_e32 v5, 31, v4
	v_lshl_add_u64 v[4:5], v[4:5], 3, s[18:19]
	v_add_u32_e32 v9, -1, v10
	v_add_u32_e32 v17, 1, v10
	global_load_dwordx2 v[62:63], v[4:5], off
	v_add_u32_e32 v4, v11, v9
	v_add_u32_e32 v12, v11, v17
	v_ashrrev_i32_e32 v5, 31, v4
	v_ashrrev_i32_e32 v13, 31, v12
	v_lshl_add_u64 v[4:5], v[4:5], 3, s[14:15]
	v_lshl_add_u64 v[12:13], v[12:13], 3, s[14:15]
	global_load_dwordx2 v[28:29], v[4:5], off
	global_load_dwordx2 v[58:59], v[12:13], off
	v_ashrrev_i32_e32 v3, 31, v2
	v_add_u32_e32 v30, v8, v41
	v_lshl_add_u64 v[6:7], v[2:3], 3, s[30:31]
	v_add_u32_e32 v2, v30, v40
	v_ashrrev_i32_e32 v3, 31, v2
	v_lshlrev_b64 v[54:55], 3, v[2:3]
	global_load_dwordx4 v[42:45], v[6:7], off
	v_lshl_add_u64 v[2:3], s[24:25], 0, v[54:55]
	global_load_dwordx2 v[2:3], v[2:3], off
	v_add_u32_e32 v60, v16, v9
	v_add_u32_e32 v57, v16, v17
	v_add_u32_e32 v5, v60, v40
	v_add_u32_e32 v50, s2, v10
	v_add_u32_e32 v12, v57, v40
	v_add_u32_e32 v4, s4, v5
	v_add_u32_e32 v35, v8, v50
	v_add_u32_e32 v26, s4, v12
	v_mov_b32_e32 v34, v5
	v_ashrrev_i32_e32 v5, 31, v4
	v_add_u32_e32 v15, v35, v40
	v_ashrrev_i32_e32 v27, 31, v26
	v_lshl_add_u64 v[4:5], v[4:5], 3, s[18:19]
	v_add_u32_e32 v18, s4, v15
	scratch_store_dword off, v12, off offset:188 ; 4-byte Folded Spill
	v_lshl_add_u64 v[12:13], v[26:27], 3, s[18:19]
	global_load_dwordx2 v[32:33], v[4:5], off
	v_lshl_add_u64 v[4:5], s[14:15], 0, v[54:55]
	v_ashrrev_i32_e32 v19, 31, v18
	global_load_dwordx2 v[52:53], v[12:13], off
	v_add_u32_e32 v12, 2, v10
	global_load_dwordx2 v[104:105], v[4:5], off
	v_lshlrev_b64 v[4:5], 3, v[18:19]
	v_add_u32_e32 v10, v11, v12
	v_lshl_add_u64 v[8:9], s[18:19], 0, v[4:5]
	v_ashrrev_i32_e32 v11, 31, v10
	global_load_dwordx2 v[8:9], v[8:9], off
	v_lshl_add_u64 v[10:11], v[10:11], 3, s[14:15]
	v_add_u32_e32 v36, v16, v12
	global_load_dwordx2 v[70:71], v[10:11], off
	v_add_u32_e32 v10, v36, v40
	v_add_u32_e32 v22, s4, v10
	v_ashrrev_i32_e32 v23, 31, v22
	scratch_store_dword off, v34, off offset:184 ; 4-byte Folded Spill
	scratch_store_dword off, v10, off offset:216 ; 4-byte Folded Spill
	v_lshl_add_u64 v[10:11], v[22:23], 3, s[18:19]
	s_mul_i32 s5, s4, 3
	s_lshl_b32 s6, s4, 1
	v_lshl_add_u64 v[4:5], s[12:13], 0, v[4:5]
	s_lshl_b32 s7, s4, 2
	s_waitcnt vmcnt(13)
	scratch_store_dwordx2 off, v[38:39], off offset:208 ; 8-byte Folded Spill
	s_waitcnt vmcnt(12)
	scratch_store_dwordx2 off, v[28:29], off offset:160 ; 8-byte Folded Spill
	;; [unrolled: 2-line block ×3, first 2 shown]
	global_load_dwordx2 v[72:73], v[10:11], off
	global_load_dwordx2 v[64:65], v[0:1], off offset:16
	global_load_dwordx4 v[66:69], v[6:7], off offset:-16
	s_waitcnt vmcnt(15)
	v_mul_f64 v[0:1], v[46:47], v[42:43]
	v_div_scale_f64 v[16:17], s[2:3], v[42:43], v[42:43], 1.0
	s_waitcnt vmcnt(14)
	v_div_scale_f64 v[10:11], s[2:3], v[2:3], v[2:3], v[0:1]
	v_rcp_f64_e32 v[12:13], v[10:11]
	v_div_scale_f64 v[20:21], vcc, v[0:1], v[2:3], v[0:1]
	v_fma_f64 v[24:25], -v[10:11], v[12:13], 1.0
	v_fmac_f64_e32 v[12:13], v[12:13], v[24:25]
	v_fma_f64 v[24:25], -v[10:11], v[12:13], 1.0
	v_fmac_f64_e32 v[12:13], v[12:13], v[24:25]
	v_mul_f64 v[24:25], v[20:21], v[12:13]
	v_fma_f64 v[10:11], -v[10:11], v[24:25], v[20:21]
	v_rcp_f64_e32 v[20:21], v[16:17]
	v_div_fmas_f64 v[10:11], v[10:11], v[12:13], v[24:25]
	v_div_fixup_f64 v[0:1], v[10:11], v[2:3], v[0:1]
	scratch_store_dwordx2 off, v[0:1], off  ; 8-byte Folded Spill
	v_fma_f64 v[0:1], -v[16:17], v[20:21], 1.0
	v_fmac_f64_e32 v[20:21], v[20:21], v[0:1]
	v_div_scale_f64 v[10:11], s[2:3], v[46:47], v[46:47], 1.0
	v_fma_f64 v[0:1], -v[16:17], v[20:21], 1.0
	v_rcp_f64_e32 v[12:13], v[10:11]
	v_fmac_f64_e32 v[20:21], v[20:21], v[0:1]
	v_div_scale_f64 v[0:1], vcc, 1.0, v[42:43], 1.0
	v_mul_f64 v[2:3], v[0:1], v[20:21]
	v_fma_f64 v[0:1], -v[16:17], v[2:3], v[0:1]
	s_waitcnt vmcnt(12)
	scratch_store_dwordx2 off, v[52:53], off offset:200 ; 8-byte Folded Spill
	v_div_fmas_f64 v[80:81], v[0:1], v[20:21], v[2:3]
	v_fma_f64 v[0:1], -v[10:11], v[12:13], 1.0
	v_fmac_f64_e32 v[12:13], v[12:13], v[0:1]
	v_fma_f64 v[0:1], -v[10:11], v[12:13], 1.0
	v_fmac_f64_e32 v[12:13], v[12:13], v[0:1]
	v_div_scale_f64 v[0:1], vcc, 1.0, v[46:47], 1.0
	v_mul_f64 v[2:3], v[0:1], v[12:13]
	v_fma_f64 v[0:1], -v[10:11], v[2:3], v[0:1]
	scratch_store_dwordx2 off, v[32:33], off offset:152 ; 8-byte Folded Spill
	s_nop 0
	v_div_fmas_f64 v[0:1], v[0:1], v[12:13], v[2:3]
	scratch_store_dwordx2 off, v[0:1], off offset:228 ; 8-byte Folded Spill
	v_mul_f64 v[0:1], v[38:39], v[62:63]
	v_mul_f64 v[12:13], v[62:63], v[0:1]
	;; [unrolled: 1-line block ×4, first 2 shown]
	s_waitcnt vmcnt(13)
	v_mul_f64 v[0:1], v[104:105], v[8:9]
	v_mul_f64 v[0:1], v[8:9], v[0:1]
	v_mul_f64 v[8:9], v[58:59], v[52:53]
	v_mul_f64 v[2:3], v[98:99], v[28:29]
	v_mul_f64 v[10:11], v[46:47], v[0:1]
	v_mul_f64 v[52:53], v[52:53], v[8:9]
	v_mul_f64 v[8:9], v[48:49], v[52:53]
	v_fma_f64 v[24:25], v[96:97], v[12:13], v[10:11]
	v_mov_b64_e32 v[20:21], v[2:3]
	v_fmac_f64_e32 v[20:21], 0xbfe80000, v[24:25]
	v_fma_f64 v[24:25], v[96:97], v[12:13], v[8:9]
	v_fma_f64 v[12:13], v[98:99], v[28:29], v[10:11]
	v_fmac_f64_e32 v[24:25], 0x40080000, v[12:13]
	v_fma_f64 v[12:13], v[48:49], v[52:53], v[10:11]
	s_mov_b32 s3, 0x3fe55555
	s_waitcnt vmcnt(6)
	v_mul_f64 v[16:17], v[70:71], v[72:73]
	v_mul_f64 v[16:17], v[72:73], v[16:17]
	s_waitcnt vmcnt(5)
	v_fmac_f64_e32 v[2:3], v[64:65], v[16:17]
	v_fmac_f64_e32 v[2:3], 0x40080000, v[12:13]
	v_add_u32_e32 v12, s5, v61
	v_ashrrev_i32_e32 v13, 31, v12
	v_lshl_add_u64 v[12:13], v[12:13], 3, s[12:13]
	global_load_dwordx2 v[28:29], v[12:13], off
	v_add_u32_e32 v12, s6, v18
	v_ashrrev_i32_e32 v13, 31, v12
	v_lshlrev_b64 v[18:19], 3, v[12:13]
	v_lshl_add_u64 v[12:13], s[12:13], 0, v[18:19]
	v_mov_b64_e32 v[38:39], v[18:19]
	v_add_u32_e32 v18, s6, v26
	v_ashrrev_i32_e32 v19, 31, v18
	v_lshl_add_u64 v[18:19], v[18:19], 3, s[12:13]
	global_load_dwordx2 v[100:101], v[12:13], off
	global_load_dwordx2 v[52:53], v[18:19], off
	v_add_u32_e32 v12, s5, v34
	v_add_u32_e32 v18, s6, v22
	v_ashrrev_i32_e32 v13, 31, v12
	v_ashrrev_i32_e32 v19, 31, v18
	v_lshl_add_u64 v[12:13], v[12:13], 3, s[12:13]
	v_lshl_add_u64 v[18:19], v[18:19], 3, s[12:13]
	v_mov_b64_e32 v[88:89], v[64:65]
	global_load_dwordx2 v[12:13], v[12:13], off
	v_fmac_f64_e32 v[10:11], v[88:89], v[16:17]
	global_load_dwordx2 v[64:65], v[18:19], off
	v_add_u32_e32 v18, -2, v31
	v_mul_lo_u32 v22, v18, s1
	v_add_u32_e32 v31, v40, v41
	v_add_u32_e32 v18, v31, v22
	v_ashrrev_i32_e32 v19, 31, v18
	v_lshl_add_u64 v[18:19], v[18:19], 3, s[14:15]
	global_load_dwordx2 v[76:77], v[18:19], off
	v_add_u32_e32 v18, v22, v50
	v_add_u32_e32 v19, v18, v40
	scratch_store_dword off, v18, off offset:168 ; 4-byte Folded Spill
	v_add_u32_e32 v18, s4, v19
	v_mov_b32_e32 v34, v19
	v_ashrrev_i32_e32 v19, 31, v18
	v_lshl_add_u64 v[18:19], v[18:19], 3, s[18:19]
	v_add_u32_e32 v26, s1, v22
	global_load_dwordx2 v[74:75], v[18:19], off
	v_add_u32_e32 v18, v31, v26
	v_ashrrev_i32_e32 v19, 31, v18
	v_lshl_add_u64 v[18:19], v[18:19], 3, s[14:15]
	global_load_dwordx2 v[58:59], v[18:19], off
	v_add_u32_e32 v18, v26, v50
	scratch_store_dword off, v18, off offset:172 ; 4-byte Folded Spill
	v_add_u32_e32 v18, v18, v40
	scratch_store_dword off, v18, off offset:72 ; 4-byte Folded Spill
	v_add_u32_e32 v18, s4, v18
	v_ashrrev_i32_e32 v19, 31, v18
	v_lshl_add_u64 v[22:23], v[18:19], 3, s[18:19]
	v_lshl_add_u32 v19, s1, 1, v26
	global_load_dwordx2 v[32:33], v[22:23], off
	v_add_u32_e32 v22, v31, v19
	v_ashrrev_i32_e32 v23, 31, v22
	v_lshl_add_u64 v[22:23], v[22:23], 3, s[14:15]
	global_load_dwordx2 v[82:83], v[22:23], off
	v_add_u32_e32 v22, v19, v50
	scratch_store_dword off, v22, off offset:176 ; 4-byte Folded Spill
	v_add_u32_e32 v22, v22, v40
	v_add_u32_e32 v26, s4, v22
	v_ashrrev_i32_e32 v27, 31, v26
	scratch_store_dword off, v22, off offset:100 ; 4-byte Folded Spill
	v_lshl_add_u64 v[22:23], v[26:27], 3, s[18:19]
	v_add_u32_e32 v19, s1, v19
	global_load_dwordx2 v[78:79], v[22:23], off
	v_add_u32_e32 v22, v31, v19
	v_ashrrev_i32_e32 v23, 31, v22
	v_lshl_add_u64 v[22:23], v[22:23], 3, s[14:15]
	global_load_dwordx2 v[86:87], v[22:23], off
	v_add_u32_e32 v19, v19, v50
	scratch_store_dword off, v19, off offset:180 ; 4-byte Folded Spill
	v_add_u32_e32 v19, v19, v40
	v_add_u32_e32 v22, s4, v19
	v_ashrrev_i32_e32 v23, 31, v22
	scratch_store_dwordx2 off, v[88:89], off offset:220 ; 8-byte Folded Spill
	scratch_store_dwordx2 off, v[38:39], off offset:144 ; 8-byte Folded Spill
	scratch_store_dword off, v34, off offset:124 ; 4-byte Folded Spill
	scratch_store_dword off, v19, off offset:120 ; 4-byte Folded Spill
	v_lshl_add_u64 v[40:41], v[22:23], 3, s[18:19]
	v_fmac_f64_e32 v[8:9], 0xbfe80000, v[10:11]
	s_mov_b32 s1, 0x3fc55555
	s_waitcnt vmcnt(18)
	v_add_f64 v[10:11], v[12:13], -v[100:101]
	v_mul_f64 v[102:103], v[24:25], v[10:11]
	s_waitcnt vmcnt(16)
	scratch_store_dwordx2 off, v[76:77], off offset:48 ; 8-byte Folded Spill
	s_waitcnt vmcnt(14)
	scratch_store_dwordx2 off, v[58:59], off offset:16 ; 8-byte Folded Spill
	;; [unrolled: 2-line block ×4, first 2 shown]
	global_load_dwordx2 v[84:85], v[40:41], off
	s_nop 0
	global_load_dwordx2 v[40:41], v[6:7], off offset:16
	v_add_f64 v[6:7], v[28:29], -v[100:101]
	v_fmac_f64_e32 v[102:103], v[20:21], v[6:7]
	v_add_f64 v[6:7], v[52:53], -v[100:101]
	v_fmac_f64_e32 v[102:103], v[2:3], v[6:7]
	;; [unrolled: 2-line block ×3, first 2 shown]
	v_mul_f64 v[2:3], v[76:77], v[74:75]
	v_mul_f64 v[6:7], v[42:43], v[0:1]
	;; [unrolled: 1-line block ×9, first 2 shown]
	v_fma_f64 v[24:25], v[66:67], v[10:11], v[6:7]
	v_fma_f64 v[10:11], v[66:67], v[10:11], v[0:1]
	;; [unrolled: 1-line block ×3, first 2 shown]
	v_fmac_f64_e32 v[10:11], 0x40080000, v[12:13]
	v_fma_f64 v[12:13], v[44:45], v[16:17], v[6:7]
	v_add_u32_e32 v16, s6, v18
	v_ashrrev_i32_e32 v17, 31, v16
	v_lshlrev_b64 v[16:17], 3, v[16:17]
	v_add_u32_e32 v18, s6, v26
	scratch_store_dwordx2 off, v[16:17], off offset:104 ; 8-byte Folded Spill
	v_lshl_add_u64 v[16:17], s[12:13], 0, v[16:17]
	v_ashrrev_i32_e32 v19, 31, v18
	v_lshlrev_b64 v[18:19], 3, v[18:19]
	scratch_store_dwordx2 off, v[18:19], off offset:112 ; 8-byte Folded Spill
	v_lshl_add_u64 v[18:19], s[12:13], 0, v[18:19]
	scratch_store_dwordx2 off, v[32:33], off offset:8 ; 8-byte Folded Spill
	scratch_store_dwordx2 off, v[74:75], off offset:40 ; 8-byte Folded Spill
	scratch_store_dwordx4 off, v[66:69], off offset:56 ; 16-byte Folded Spill
	scratch_store_dwordx2 off, v[78:79], off offset:32 ; 8-byte Folded Spill
	global_load_dwordx2 v[16:17], v[16:17], off
	s_waitcnt vmcnt(8)
	v_mul_f64 v[8:9], v[86:87], v[84:85]
	v_mul_f64 v[20:21], v[84:85], v[8:9]
	v_mov_b64_e32 v[8:9], v[2:3]
	s_waitcnt vmcnt(7)
	v_fmac_f64_e32 v[2:3], v[40:41], v[20:21]
	v_fmac_f64_e32 v[2:3], 0x40080000, v[12:13]
	v_add_u32_e32 v12, s5, v34
	v_ashrrev_i32_e32 v13, 31, v12
	v_lshlrev_b64 v[12:13], 3, v[12:13]
	v_fmac_f64_e32 v[6:7], v[40:41], v[20:21]
	scratch_store_dwordx2 off, v[12:13], off offset:128 ; 8-byte Folded Spill
	v_lshl_add_u64 v[12:13], s[12:13], 0, v[12:13]
	v_add_u32_e32 v20, s6, v22
	global_load_dwordx2 v[12:13], v[12:13], off
	v_ashrrev_i32_e32 v21, 31, v20
	v_lshlrev_b64 v[20:21], 3, v[20:21]
	global_load_dwordx2 v[18:19], v[18:19], off
	v_fmac_f64_e32 v[0:1], 0xbfe80000, v[6:7]
	scratch_store_dwordx2 off, v[20:21], off offset:136 ; 8-byte Folded Spill
	v_lshl_add_u64 v[20:21], s[12:13], 0, v[20:21]
	global_load_dwordx2 v[20:21], v[20:21], off
	v_fmac_f64_e32 v[8:9], 0xbfe80000, v[24:25]
	scratch_store_dwordx2 off, v[84:85], off offset:92 ; 8-byte Folded Spill
	scratch_store_dwordx2 off, v[40:41], off offset:76 ; 8-byte Folded Spill
	s_waitcnt vmcnt(5)
	v_add_f64 v[6:7], v[12:13], -v[100:101]
	v_add_f64 v[12:13], v[16:17], -v[100:101]
	v_mul_f64 v[108:109], v[10:11], v[12:13]
	v_fmac_f64_e32 v[108:109], v[8:9], v[6:7]
	s_waitcnt vmcnt(4)
	v_add_f64 v[6:7], v[18:19], -v[100:101]
	v_fmac_f64_e32 v[108:109], v[2:3], v[6:7]
	s_waitcnt vmcnt(2)
	v_add_f64 v[2:3], v[20:21], -v[100:101]
	v_fmac_f64_e32 v[108:109], v[0:1], v[2:3]
	v_add_u32_e32 v0, -2, v14
	v_mul_lo_u32 v33, v0, s0
	v_add_u32_e32 v0, v33, v30
	v_ashrrev_i32_e32 v1, 31, v0
	v_lshlrev_b64 v[0:1], 3, v[0:1]
	v_lshl_add_u64 v[2:3], s[14:15], 0, v[0:1]
	v_lshl_add_u64 v[0:1], s[16:17], 0, v[0:1]
	v_add_u32_e32 v31, v33, v35
	global_load_dwordx2 v[112:113], v[0:1], off
	v_add_u32_e32 v0, s6, v31
	v_ashrrev_i32_e32 v1, 31, v0
	v_lshlrev_b64 v[86:87], 3, v[0:1]
	global_load_dwordx2 v[52:53], v[2:3], off
	v_lshl_add_u64 v[2:3], s[18:19], 0, v[86:87]
	v_add_u32_e32 v58, s0, v33
	global_load_dwordx2 v[106:107], v[2:3], off
	v_add_u32_e32 v2, v58, v30
	v_ashrrev_i32_e32 v3, 31, v2
	v_lshlrev_b64 v[2:3], 3, v[2:3]
	v_lshl_add_u64 v[6:7], s[14:15], 0, v[2:3]
	global_load_dwordx2 v[50:51], v[6:7], off
	v_lshl_add_u64 v[6:7], s[16:17], 0, v[54:55]
	global_load_dwordx2 v[20:21], v[6:7], off
	v_add_u32_e32 v6, s6, v15
	v_lshl_add_u64 v[2:3], s[16:17], 0, v[2:3]
	v_add_u32_e32 v12, v58, v35
	v_ashrrev_i32_e32 v7, 31, v6
	global_load_dwordx2 v[82:83], v[2:3], off
	v_add_u32_e32 v2, s6, v12
	v_lshlrev_b64 v[18:19], 3, v[6:7]
	v_add_u32_e32 v6, s6, v6
	v_ashrrev_i32_e32 v3, 31, v2
	v_ashrrev_i32_e32 v7, 31, v6
	v_lshl_add_u64 v[8:9], s[18:19], 0, v[18:19]
	v_lshl_add_u64 v[6:7], v[6:7], 3, s[18:19]
	v_lshlrev_b64 v[14:15], 3, v[2:3]
	global_load_dwordx2 v[114:115], v[8:9], off
	global_load_dwordx2 v[120:121], v[6:7], off
	v_lshl_add_u64 v[8:9], s[18:19], 0, v[14:15]
	v_add_u32_e32 v2, s6, v2
	v_add_u32_e32 v0, s6, v0
	global_load_dwordx2 v[92:93], v[8:9], off
	v_ashrrev_i32_e32 v3, 31, v2
	v_ashrrev_i32_e32 v1, 31, v0
	v_lshl_add_u64 v[2:3], v[2:3], 3, s[18:19]
	v_lshl_add_u64 v[0:1], v[0:1], 3, s[18:19]
	global_load_dwordx2 v[84:85], v[2:3], off
	global_load_dwordx2 v[116:117], v[0:1], off
	v_lshl_add_u32 v32, s0, 1, v58
	v_add_u32_e32 v6, v32, v35
	v_add_u32_e32 v74, s4, v31
	v_ashrrev_i32_e32 v75, 31, v74
	v_lshlrev_b64 v[118:119], 3, v[74:75]
	v_lshl_add_u64 v[14:15], s[12:13], 0, v[14:15]
	v_add_u32_e32 v37, s0, v32
	s_mov_b32 s0, 0x55555555
	s_mov_b32 s2, s0
	global_load_dwordx2 v[14:15], v[14:15], off
	s_waitcnt vmcnt(10)
	v_add_f64 v[122:123], v[52:53], v[112:113]
	s_waitcnt vmcnt(7)
	v_add_f64 v[0:1], v[104:105], v[20:21]
	v_fmac_f64_e32 v[20:21], 2.0, v[104:105]
	s_waitcnt vmcnt(6)
	v_add_f64 v[24:25], v[50:51], v[82:83]
	s_waitcnt vmcnt(5)
	v_mul_f64 v[2:3], v[0:1], v[114:115]
	s_waitcnt vmcnt(4)
	v_mul_f64 v[8:9], v[2:3], v[120:121]
	v_mul_f64 v[2:3], v[122:123], v[106:107]
	s_waitcnt vmcnt(3)
	v_mul_f64 v[10:11], v[24:25], v[92:93]
	s_waitcnt vmcnt(2)
	;; [unrolled: 2-line block ×3, first 2 shown]
	v_fma_f64 v[22:23], v[2:3], v[116:117], v[8:9]
	v_mov_b64_e32 v[28:29], v[16:17]
	v_fmac_f64_e32 v[28:29], 0xbfe80000, v[22:23]
	v_add_u32_e32 v22, v32, v30
	v_ashrrev_i32_e32 v23, 31, v22
	v_lshlrev_b64 v[22:23], 3, v[22:23]
	v_lshl_add_u64 v[26:27], s[14:15], 0, v[22:23]
	v_lshl_add_u64 v[22:23], s[16:17], 0, v[22:23]
	global_load_dwordx2 v[88:89], v[22:23], off
	v_add_u32_e32 v22, s6, v6
	v_ashrrev_i32_e32 v23, 31, v22
	global_load_dwordx2 v[54:55], v[26:27], off
	v_lshlrev_b64 v[26:27], 3, v[22:23]
	v_add_u32_e32 v22, s6, v22
	v_lshl_add_u64 v[64:65], s[18:19], 0, v[26:27]
	v_ashrrev_i32_e32 v23, 31, v22
	global_load_dwordx2 v[94:95], v[64:65], off
	v_lshl_add_u64 v[22:23], v[22:23], 3, s[18:19]
	global_load_dwordx2 v[90:91], v[22:23], off
	global_load_dwordx2 v[64:65], v[4:5], off
	v_add_u32_e32 v4, s4, v12
	v_fma_f64 v[10:11], v[10:11], v[84:85], v[8:9]
	v_ashrrev_i32_e32 v5, 31, v4
	s_waitcnt vmcnt(3)
	v_add_f64 v[126:127], v[54:55], v[88:89]
	s_waitcnt vmcnt(2)
	v_mul_f64 v[66:67], v[126:127], v[94:95]
	s_waitcnt vmcnt(1)
	v_mul_f64 v[22:23], v[66:67], v[90:91]
	v_fma_f64 v[2:3], v[2:3], v[116:117], v[22:23]
	v_fmac_f64_e32 v[2:3], 0x40080000, v[10:11]
	v_lshlrev_b64 v[10:11], 3, v[4:5]
	scratch_store_dwordx2 off, v[10:11], off offset:236 ; 8-byte Folded Spill
	v_lshl_add_u64 v[10:11], s[12:13], 0, v[10:11]
	global_load_dwordx2 v[10:11], v[10:11], off
	v_add_u32_e32 v5, v37, v35
	v_fma_f64 v[66:67], v[66:67], v[90:91], v[8:9]
	v_add_u32_e32 v4, s6, v4
	s_waitcnt vmcnt(0)
	v_add_f64 v[10:11], v[10:11], -v[64:65]
	v_mul_f64 v[12:13], v[2:3], v[10:11]
	v_lshl_add_u64 v[2:3], s[12:13], 0, v[118:119]
	global_load_dwordx2 v[2:3], v[2:3], off
	s_waitcnt vmcnt(0)
	v_add_f64 v[2:3], v[2:3], -v[64:65]
	v_fmac_f64_e32 v[12:13], v[28:29], v[2:3]
	v_add_u32_e32 v2, v37, v30
	v_ashrrev_i32_e32 v3, 31, v2
	v_lshlrev_b64 v[2:3], 3, v[2:3]
	v_lshl_add_u64 v[10:11], s[14:15], 0, v[2:3]
	v_lshl_add_u64 v[2:3], s[16:17], 0, v[2:3]
	global_load_dwordx2 v[30:31], v[2:3], off
	v_add_u32_e32 v2, s6, v5
	v_ashrrev_i32_e32 v3, 31, v2
	v_lshlrev_b64 v[124:125], 3, v[2:3]
	v_add_u32_e32 v2, s6, v2
	global_load_dwordx2 v[76:77], v[10:11], off
	v_lshl_add_u64 v[10:11], s[18:19], 0, v[124:125]
	v_ashrrev_i32_e32 v3, 31, v2
	global_load_dwordx2 v[110:111], v[10:11], off
	v_lshl_add_u64 v[2:3], v[2:3], 3, s[18:19]
	global_load_dwordx2 v[10:11], v[2:3], off
	s_waitcnt vmcnt(2)
	v_add_f64 v[28:29], v[76:77], v[30:31]
	s_waitcnt vmcnt(1)
	v_mul_f64 v[2:3], v[28:29], v[110:111]
	s_waitcnt vmcnt(0)
	v_fmac_f64_e32 v[16:17], v[2:3], v[10:11]
	v_fmac_f64_e32 v[16:17], 0x40080000, v[66:67]
	v_add_u32_e32 v66, s4, v6
	v_ashrrev_i32_e32 v67, 31, v66
	v_lshlrev_b64 v[68:69], 3, v[66:67]
	v_lshl_add_u64 v[78:79], s[12:13], 0, v[68:69]
	global_load_dwordx2 v[78:79], v[78:79], off
	v_add_u32_e32 v6, s4, v5
	v_ashrrev_i32_e32 v7, 31, v6
	v_lshlrev_b64 v[34:35], 3, v[6:7]
	v_fmac_f64_e32 v[8:9], v[2:3], v[10:11]
	v_fmac_f64_e32 v[22:23], 0xbfe80000, v[8:9]
	v_ashrrev_i32_e32 v5, 31, v4
	v_add_u32_e32 v66, s6, v66
	v_ashrrev_i32_e32 v67, 31, v66
	s_waitcnt vmcnt(0)
	v_add_f64 v[78:79], v[78:79], -v[64:65]
	v_fmac_f64_e32 v[12:13], v[16:17], v[78:79]
	v_lshl_add_u64 v[16:17], s[12:13], 0, v[34:35]
	global_load_dwordx2 v[16:17], v[16:17], off
	s_waitcnt vmcnt(0)
	v_add_f64 v[16:17], v[16:17], -v[64:65]
	v_fmac_f64_e32 v[12:13], v[22:23], v[16:17]
	v_add_u32_e32 v16, s6, v74
	v_ashrrev_i32_e32 v17, 31, v16
	v_lshlrev_b64 v[16:17], 3, v[16:17]
	v_lshl_add_u64 v[22:23], s[18:19], 0, v[16:17]
	global_load_dwordx2 v[74:75], v[22:23], off
	v_lshlrev_b64 v[22:23], 3, v[4:5]
	v_lshl_add_u64 v[4:5], s[18:19], 0, v[22:23]
	global_load_dwordx2 v[64:65], v[4:5], off
	v_lshl_add_u64 v[4:5], s[18:19], 0, v[38:39]
	global_load_dwordx2 v[8:9], v[4:5], off
	s_waitcnt vmcnt(2)
	v_mul_f64 v[78:79], v[122:123], v[74:75]
	s_waitcnt vmcnt(1)
	v_mul_f64 v[2:3], v[24:25], v[64:65]
	;; [unrolled: 2-line block ×3, first 2 shown]
	v_mul_f64 v[24:25], v[120:121], v[0:1]
	v_mul_f64 v[0:1], v[84:85], v[2:3]
	v_fma_f64 v[122:123], v[116:117], v[78:79], v[24:25]
	v_mov_b64_e32 v[4:5], v[0:1]
	v_fmac_f64_e32 v[4:5], 0xbfe80000, v[122:123]
	v_lshlrev_b64 v[122:123], 3, v[66:67]
	v_lshl_add_u64 v[66:67], s[18:19], 0, v[122:123]
	global_load_dwordx2 v[66:67], v[66:67], off
	v_fma_f64 v[2:3], v[84:85], v[2:3], v[24:25]
	s_waitcnt vmcnt(0)
	v_mul_f64 v[38:39], v[126:127], v[66:67]
	v_mul_f64 v[40:41], v[90:91], v[38:39]
	v_fma_f64 v[78:79], v[116:117], v[78:79], v[40:41]
	v_fmac_f64_e32 v[78:79], 0x40080000, v[2:3]
	v_lshl_add_u64 v[2:3], s[12:13], 0, v[18:19]
	global_load_dwordx2 v[2:3], v[2:3], off
	s_waitcnt vmcnt(0)
	v_add_f64 v[14:15], v[14:15], -v[2:3]
	v_mul_f64 v[78:79], v[78:79], v[14:15]
	v_lshl_add_u64 v[14:15], s[12:13], 0, v[86:87]
	global_load_dwordx2 v[14:15], v[14:15], off
	s_waitcnt vmcnt(0)
	v_add_f64 v[14:15], v[14:15], -v[2:3]
	v_fmac_f64_e32 v[78:79], v[4:5], v[14:15]
	v_add_u32_e32 v4, s6, v6
	v_ashrrev_i32_e32 v5, 31, v4
	v_lshlrev_b64 v[126:127], 3, v[4:5]
	v_lshl_add_u64 v[4:5], s[18:19], 0, v[126:127]
	global_load_dwordx2 v[86:87], v[4:5], off
	v_fma_f64 v[6:7], v[90:91], v[38:39], v[24:25]
	s_waitcnt vmcnt(0)
	v_mul_f64 v[4:5], v[28:29], v[86:87]
	v_fmac_f64_e32 v[0:1], v[10:11], v[4:5]
	v_fmac_f64_e32 v[0:1], 0x40080000, v[6:7]
	v_lshl_add_u64 v[6:7], s[12:13], 0, v[26:27]
	global_load_dwordx2 v[6:7], v[6:7], off
	v_fmac_f64_e32 v[24:25], v[10:11], v[4:5]
	v_fmac_f64_e32 v[40:41], 0xbfe80000, v[24:25]
	v_mul_f64 v[4:5], v[42:43], v[64:65]
	v_mul_f64 v[4:5], v[64:65], v[4:5]
	;; [unrolled: 1-line block ×3, first 2 shown]
	s_waitcnt vmcnt(0)
	v_add_f64 v[6:7], v[6:7], -v[2:3]
	v_fmac_f64_e32 v[78:79], v[0:1], v[6:7]
	v_lshl_add_u64 v[0:1], s[12:13], 0, v[124:125]
	global_load_dwordx2 v[0:1], v[0:1], off
	v_add3_u32 v6, v37, v56, s4
	v_ashrrev_i32_e32 v7, 31, v6
	v_mul_f64 v[124:125], v[108:109], s[0:1]
	s_waitcnt vmcnt(0)
	v_add_f64 v[0:1], v[0:1], -v[2:3]
	v_mul_f64 v[2:3], v[42:43], v[8:9]
	v_fmac_f64_e32 v[78:79], v[40:41], v[0:1]
	v_mul_f64 v[0:1], v[46:47], v[114:115]
	v_mul_f64 v[2:3], v[8:9], v[2:3]
	v_mul_f64 v[0:1], v[114:115], v[0:1]
	v_mul_f64 v[2:3], v[42:43], v[2:3]
	v_fmac_f64_e32 v[2:3], v[46:47], v[0:1]
	v_mul_f64 v[26:27], v[104:105], v[2:3]
	v_mul_f64 v[0:1], v[20:21], v[120:121]
	;; [unrolled: 1-line block ×3, first 2 shown]
	v_fmac_f64_e32 v[26:27], v[120:121], v[0:1]
	v_mul_f64 v[0:1], v[46:47], v[106:107]
	v_mul_f64 v[2:3], v[74:75], v[2:3]
	;; [unrolled: 1-line block ×4, first 2 shown]
	v_fmac_f64_e32 v[2:3], v[46:47], v[0:1]
	v_fma_f64 v[0:1], 2.0, v[52:53], v[112:113]
	v_mul_f64 v[0:1], v[0:1], v[116:117]
	v_mul_f64 v[2:3], v[52:53], v[2:3]
	v_fmac_f64_e32 v[2:3], v[116:117], v[0:1]
	v_mul_f64 v[0:1], v[46:47], v[92:93]
	v_mul_f64 v[0:1], v[92:93], v[0:1]
	v_fmac_f64_e32 v[4:5], v[46:47], v[0:1]
	v_fma_f64 v[0:1], 2.0, v[50:51], v[82:83]
	v_mul_f64 v[0:1], v[0:1], v[84:85]
	v_mul_f64 v[24:25], v[50:51], v[4:5]
	v_mul_f64 v[4:5], v[42:43], v[66:67]
	v_fmac_f64_e32 v[24:25], v[84:85], v[0:1]
	v_mul_f64 v[0:1], v[46:47], v[94:95]
	v_mul_f64 v[4:5], v[66:67], v[4:5]
	;; [unrolled: 1-line block ×4, first 2 shown]
	v_fmac_f64_e32 v[4:5], v[46:47], v[0:1]
	v_fma_f64 v[0:1], 2.0, v[54:55], v[88:89]
	v_mul_f64 v[0:1], v[0:1], v[90:91]
	v_mul_f64 v[20:21], v[54:55], v[4:5]
	v_fmac_f64_e32 v[20:21], v[90:91], v[0:1]
	v_add_f64 v[0:1], v[2:3], v[26:27]
	v_mov_b64_e32 v[104:105], v[24:25]
	v_fmac_f64_e32 v[104:105], 0xbfe80000, v[0:1]
	v_add_f64 v[0:1], v[2:3], v[20:21]
	v_add_f64 v[2:3], v[24:25], v[26:27]
	v_fmac_f64_e32 v[0:1], 0x40080000, v[2:3]
	v_lshl_add_u64 v[2:3], s[12:13], 0, v[22:23]
	global_load_dwordx2 v[2:3], v[2:3], off
	v_add3_u32 v8, v37, v57, s4
	v_ashrrev_i32_e32 v9, 31, v8
	v_mov_b64_e32 v[40:41], v[50:51]
	s_waitcnt vmcnt(0)
	v_add_f64 v[2:3], v[2:3], -v[100:101]
	v_mul_f64 v[18:19], v[0:1], v[2:3]
	v_lshl_add_u64 v[0:1], s[12:13], 0, v[16:17]
	global_load_dwordx2 v[0:1], v[0:1], off
	v_mul_f64 v[2:3], v[42:43], v[86:87]
	v_mul_f64 v[2:3], v[86:87], v[2:3]
	;; [unrolled: 1-line block ×3, first 2 shown]
	s_waitcnt vmcnt(0)
	v_add_f64 v[0:1], v[0:1], -v[100:101]
	v_fmac_f64_e32 v[18:19], v[104:105], v[0:1]
	v_mul_f64 v[0:1], v[46:47], v[110:111]
	v_mul_f64 v[0:1], v[110:111], v[0:1]
	v_fmac_f64_e32 v[2:3], v[46:47], v[0:1]
	v_fma_f64 v[0:1], 2.0, v[76:77], v[30:31]
	v_mul_f64 v[4:5], v[0:1], v[10:11]
	v_mul_f64 v[0:1], v[76:77], v[2:3]
	v_fmac_f64_e32 v[0:1], v[10:11], v[4:5]
	v_add_f64 v[16:17], v[24:25], v[0:1]
	v_add_f64 v[2:3], v[26:27], v[20:21]
	v_fmac_f64_e32 v[16:17], 0x40080000, v[2:3]
	v_lshl_add_u64 v[2:3], s[12:13], 0, v[122:123]
	global_load_dwordx2 v[2:3], v[2:3], off
	v_add_f64 v[0:1], v[26:27], v[0:1]
	v_fmac_f64_e32 v[20:21], 0xbfe80000, v[0:1]
	v_lshl_add_u64 v[0:1], s[12:13], 0, v[126:127]
	global_load_dwordx2 v[0:1], v[0:1], off
	v_mul_f64 v[122:123], v[102:103], s[0:1]
	v_mul_f64 v[126:127], v[12:13], s[0:1]
	;; [unrolled: 1-line block ×3, first 2 shown]
	s_waitcnt vmcnt(1)
	v_add_f64 v[2:3], v[2:3], -v[100:101]
	v_fmac_f64_e32 v[18:19], v[16:17], v[2:3]
	v_add3_u32 v2, v37, v36, s4
	v_ashrrev_i32_e32 v3, 31, v2
	s_waitcnt vmcnt(0)
	v_add_f64 v[0:1], v[0:1], -v[100:101]
	v_lshl_add_u64 v[4:5], v[2:3], 3, s[12:13]
	v_fmac_f64_e32 v[18:19], v[20:21], v[0:1]
	v_mul_f64 v[0:1], v[30:31], v[10:11]
	global_load_dwordx2 v[28:29], v[4:5], off
	v_lshl_add_u64 v[4:5], v[6:7], 3, s[12:13]
	v_add3_u32 v10, v37, v60, s4
	global_load_dwordx2 v[104:105], v[4:5], off
	v_lshl_add_u64 v[4:5], v[8:9], 3, s[12:13]
	v_ashrrev_i32_e32 v11, 31, v10
	global_load_dwordx2 v[24:25], v[4:5], off
	v_lshl_add_u64 v[4:5], v[10:11], 3, s[12:13]
	global_load_dwordx2 v[120:121], v[4:5], off
	v_add_u32_e32 v2, s6, v2
	v_mul_f64 v[22:23], v[18:19], s[0:1]
	s_mov_b32 s1, 0xbfb55555
	v_ashrrev_i32_e32 v3, 31, v2
	v_lshl_add_u64 v[2:3], v[2:3], 3, s[12:13]
	s_waitcnt vmcnt(2)
	v_add_f64 v[4:5], v[28:29], -v[104:105]
	v_mul_f64 v[12:13], v[4:5], s[0:1]
	s_waitcnt vmcnt(0)
	v_add_f64 v[4:5], v[24:25], -v[120:121]
	v_fmac_f64_e32 v[12:13], s[2:3], v[4:5]
	global_load_dwordx2 v[4:5], v[2:3], off
	v_add_u32_e32 v2, s6, v6
	v_ashrrev_i32_e32 v3, 31, v2
	v_lshl_add_u64 v[2:3], v[2:3], 3, s[12:13]
	global_load_dwordx2 v[102:103], v[2:3], off
	v_add_u32_e32 v2, s6, v8
	v_ashrrev_i32_e32 v3, 31, v2
	v_lshl_add_u64 v[2:3], v[2:3], 3, s[12:13]
	;; [unrolled: 4-line block ×3, first 2 shown]
	global_load_dwordx2 v[114:115], v[2:3], off
	v_add3_u32 v10, v33, v57, s4
	v_ashrrev_i32_e32 v11, 31, v10
	v_lshl_add_u64 v[14:15], v[10:11], 3, s[12:13]
	v_add_u32_e32 v10, s6, v10
	v_ashrrev_i32_e32 v11, 31, v10
	v_lshl_add_u64 v[10:11], v[10:11], 3, s[12:13]
	global_load_dwordx2 v[10:11], v[10:11], off
	v_add3_u32 v8, v33, v56, s4
	v_ashrrev_i32_e32 v9, 31, v8
	global_load_dwordx2 v[16:17], v[14:15], off
	v_add3_u32 v14, v33, v60, s4
	v_ashrrev_i32_e32 v15, 31, v14
	v_lshl_add_u64 v[30:31], v[14:15], 3, s[12:13]
	v_add_u32_e32 v14, s6, v14
	v_ashrrev_i32_e32 v15, 31, v14
	v_lshl_add_u64 v[14:15], v[14:15], 3, s[12:13]
	s_waitcnt vmcnt(4)
	v_add_f64 v[2:3], v[4:5], -v[102:103]
	v_mul_f64 v[2:3], v[2:3], s[0:1]
	s_waitcnt vmcnt(2)
	v_add_f64 v[6:7], v[20:21], -v[114:115]
	v_fmac_f64_e32 v[2:3], s[2:3], v[6:7]
	v_lshl_add_u64 v[6:7], s[18:19], 0, v[34:35]
	global_load_dwordx2 v[108:109], v[6:7], off
	v_mul_f64 v[6:7], v[76:77], v[110:111]
	v_div_fixup_f64 v[110:111], v[80:81], v[42:43], 1.0
	s_waitcnt vmcnt(0)
	v_mul_f64 v[6:7], v[6:7], v[108:109]
	v_mul_f64 v[2:3], v[6:7], v[2:3]
	;; [unrolled: 1-line block ×6, first 2 shown]
	v_fmac_f64_e32 v[6:7], v[110:111], v[0:1]
	v_add3_u32 v0, v33, v36, s4
	v_ashrrev_i32_e32 v1, 31, v0
	v_lshl_add_u64 v[2:3], v[0:1], 3, s[12:13]
	v_add_u32_e32 v0, s6, v0
	v_ashrrev_i32_e32 v1, 31, v0
	global_load_dwordx2 v[18:19], v[2:3], off
	v_lshl_add_u64 v[0:1], v[0:1], 3, s[12:13]
	global_load_dwordx2 v[0:1], v[0:1], off
	v_lshl_add_u64 v[2:3], v[8:9], 3, s[12:13]
	v_add_u32_e32 v8, s6, v8
	v_ashrrev_i32_e32 v9, 31, v8
	global_load_dwordx2 v[2:3], v[2:3], off
	v_lshl_add_u64 v[8:9], v[8:9], 3, s[12:13]
	v_mul_f64 v[12:13], v[112:113], v[116:117]
	global_load_dwordx2 v[116:117], v[30:31], off
	global_load_dwordx2 v[112:113], v[14:15], off
	s_waitcnt vmcnt(3)
	v_add_f64 v[4:5], v[4:5], -v[0:1]
	global_load_dwordx2 v[8:9], v[8:9], off
	v_mul_f64 v[4:5], v[4:5], s[0:1]
	s_waitcnt vmcnt(3)
	v_add_f64 v[30:31], v[18:19], -v[2:3]
	v_mul_f64 v[30:31], v[30:31], s[0:1]
	v_add_f64 v[2:3], v[104:105], -v[2:3]
	s_waitcnt vmcnt(2)
	v_add_f64 v[34:35], v[16:17], -v[116:117]
	v_fmac_f64_e32 v[30:31], s[2:3], v[34:35]
	s_waitcnt vmcnt(1)
	v_add_f64 v[34:35], v[10:11], -v[112:113]
	v_mul_f64 v[2:3], v[2:3], s[0:1]
	v_add_f64 v[10:11], v[20:21], -v[10:11]
	v_mul_f64 v[10:11], v[10:11], s[0:1]
	s_waitcnt vmcnt(0)
	v_add_f64 v[14:15], v[0:1], -v[8:9]
	v_mul_f64 v[14:15], v[14:15], s[0:1]
	v_fmac_f64_e32 v[14:15], s[2:3], v[34:35]
	v_lshl_add_u64 v[34:35], s[18:19], 0, v[118:119]
	global_load_dwordx2 v[118:119], v[34:35], off
	v_mul_f64 v[34:35], v[52:53], v[106:107]
	v_add_f64 v[8:9], v[102:103], -v[8:9]
	v_mul_f64 v[8:9], v[8:9], s[0:1]
	v_add3_u32 v102, v32, v60, s4
	v_ashrrev_i32_e32 v103, 31, v102
	s_waitcnt vmcnt(0)
	v_mul_f64 v[34:35], v[34:35], v[118:119]
	v_mul_f64 v[14:15], v[34:35], v[14:15]
	;; [unrolled: 1-line block ×6, first 2 shown]
	v_fmac_f64_e32 v[14:15], v[110:111], v[12:13]
	scratch_load_dwordx2 v[12:13], off, off offset:228 ; 8-byte Folded Reload
	v_add_f64 v[6:7], v[6:7], -v[14:15]
	v_mul_f64 v[80:81], v[6:7], s[0:1]
	v_add3_u32 v14, v32, v36, s4
	v_ashrrev_i32_e32 v15, 31, v14
	v_add_u32_e32 v0, s6, v14
	v_ashrrev_i32_e32 v1, 31, v0
	v_lshl_add_u64 v[0:1], v[0:1], 3, s[12:13]
	s_waitcnt vmcnt(0)
	v_div_fixup_f64 v[78:79], v[12:13], v[46:47], 1.0
	v_mul_f64 v[6:7], v[78:79], v[110:111]
	v_fmac_f64_e32 v[80:81], v[6:7], v[22:23]
	v_add3_u32 v22, v58, v36, s4
	v_lshl_add_u64 v[6:7], v[14:15], 3, s[12:13]
	v_ashrrev_i32_e32 v23, 31, v22
	v_add_f64 v[12:13], v[28:29], -v[18:19]
	global_load_dwordx2 v[18:19], v[6:7], off
	v_lshl_add_u64 v[6:7], v[22:23], 3, s[12:13]
	global_load_dwordx2 v[6:7], v[6:7], off
	v_mul_f64 v[12:13], v[12:13], s[0:1]
	scratch_load_dword v15, off, off offset:216 ; 4-byte Folded Reload
	s_waitcnt vmcnt(1)
	v_add_f64 v[28:29], v[18:19], -v[6:7]
	v_fmac_f64_e32 v[12:13], s[2:3], v[28:29]
	s_waitcnt vmcnt(0)
	v_add_u32_e32 v28, s7, v15
	global_load_dwordx2 v[14:15], v[0:1], off
	v_add_u32_e32 v0, s6, v22
	v_ashrrev_i32_e32 v1, 31, v0
	v_lshl_add_u64 v[0:1], v[0:1], 3, s[12:13]
	global_load_dwordx2 v[0:1], v[0:1], off
	v_ashrrev_i32_e32 v29, 31, v28
	v_lshl_add_u64 v[30:31], v[28:29], 3, s[18:19]
	v_subrev_u32_e32 v28, s6, v28
	v_ashrrev_i32_e32 v29, 31, v28
	v_lshl_add_u64 v[28:29], v[28:29], 3, s[18:19]
	global_load_dwordx2 v[30:31], v[30:31], off
	s_waitcnt vmcnt(1)
	v_add_f64 v[22:23], v[14:15], -v[0:1]
	global_load_dwordx2 v[28:29], v[28:29], off
	v_fmac_f64_e32 v[4:5], s[2:3], v[22:23]
	scratch_load_dwordx2 v[22:23], off, off offset:220 ; 8-byte Folded Reload
	s_waitcnt vmcnt(2)
	v_mul_f64 v[30:31], v[70:71], v[30:31]
	v_mul_f64 v[30:31], v[72:73], v[30:31]
	s_waitcnt vmcnt(1)
	v_mul_f64 v[28:29], v[70:71], v[28:29]
	v_mul_f64 v[28:29], v[72:73], v[28:29]
	v_mul_f64 v[4:5], v[4:5], v[28:29]
	s_waitcnt vmcnt(0)
	v_mul_f64 v[4:5], v[22:23], v[4:5]
	v_fmac_f64_e32 v[4:5], v[12:13], v[30:31]
	v_add3_u32 v12, v32, v56, s4
	v_ashrrev_i32_e32 v13, 31, v12
	v_lshl_add_u64 v[22:23], v[12:13], 3, s[12:13]
	global_load_dwordx2 v[72:73], v[22:23], off
	v_add3_u32 v22, v58, v56, s4
	v_ashrrev_i32_e32 v23, 31, v22
	v_lshl_add_u64 v[28:29], v[22:23], 3, s[12:13]
	global_load_dwordx2 v[70:71], v[28:29], off
	v_add_u32_e32 v12, s6, v12
	v_add_u32_e32 v22, s6, v22
	v_ashrrev_i32_e32 v13, 31, v12
	v_ashrrev_i32_e32 v23, 31, v22
	v_lshl_add_u64 v[12:13], v[12:13], 3, s[12:13]
	v_lshl_add_u64 v[22:23], v[22:23], 3, s[12:13]
	v_add3_u32 v56, v58, v60, s4
	s_waitcnt vmcnt(0)
	v_add_f64 v[28:29], v[72:73], -v[70:71]
	v_fmac_f64_e32 v[2:3], s[2:3], v[28:29]
	v_add_u32_e32 v28, s7, v61
	v_ashrrev_i32_e32 v29, 31, v28
	v_lshl_add_u64 v[30:31], v[28:29], 3, s[18:19]
	v_subrev_u32_e32 v28, s6, v28
	v_ashrrev_i32_e32 v29, 31, v28
	v_lshl_add_u64 v[28:29], v[28:29], 3, s[18:19]
	global_load_dwordx2 v[30:31], v[30:31], off
	s_nop 0
	global_load_dwordx2 v[28:29], v[28:29], off
	s_nop 0
	scratch_load_dwordx2 v[34:35], off, off offset:208 ; 8-byte Folded Reload
	v_add_f64 v[6:7], v[6:7], -v[70:71]
	global_load_dwordx2 v[12:13], v[12:13], off
	v_mul_f64 v[6:7], v[6:7], s[0:1]
	global_load_dwordx2 v[22:23], v[22:23], off
	s_waitcnt vmcnt(2)
	v_mul_f64 v[30:31], v[34:35], v[30:31]
	v_mul_f64 v[28:29], v[34:35], v[28:29]
	;; [unrolled: 1-line block ×4, first 2 shown]
	s_waitcnt vmcnt(0)
	v_add_f64 v[34:35], v[12:13], -v[22:23]
	v_fmac_f64_e32 v[8:9], s[2:3], v[34:35]
	v_mul_f64 v[8:9], v[8:9], v[28:29]
	v_mul_f64 v[28:29], v[96:97], v[8:9]
	v_add3_u32 v8, v32, v57, s4
	v_fmac_f64_e32 v[28:29], v[2:3], v[30:31]
	v_add_u32_e32 v2, s6, v8
	v_ashrrev_i32_e32 v3, 31, v2
	v_lshl_add_u64 v[2:3], v[2:3], 3, s[12:13]
	v_add_f64 v[12:13], v[14:15], -v[12:13]
	global_load_dwordx2 v[14:15], v[2:3], off
	v_add_u32_e32 v2, s6, v102
	v_ashrrev_i32_e32 v3, 31, v2
	v_lshl_add_u64 v[2:3], v[2:3], 3, s[12:13]
	global_load_dwordx2 v[2:3], v[2:3], off
	v_mul_f64 v[12:13], v[12:13], s[0:1]
	v_add_f64 v[0:1], v[0:1], -v[22:23]
	v_mul_f64 v[0:1], v[0:1], s[0:1]
	scratch_load_dword v9, off, off offset:188 ; 4-byte Folded Reload
	s_waitcnt vmcnt(1)
	v_add_f64 v[30:31], v[14:15], -v[2:3]
	v_fmac_f64_e32 v[12:13], s[2:3], v[30:31]
	v_lshl_add_u64 v[30:31], s[18:19], 0, v[68:69]
	global_load_dwordx2 v[62:63], v[30:31], off
	v_mul_f64 v[30:31], v[54:55], v[94:95]
	s_waitcnt vmcnt(0)
	v_mul_f64 v[30:31], v[30:31], v[62:63]
	v_mul_f64 v[12:13], v[30:31], v[12:13]
	v_add3_u32 v30, v58, v57, s4
	v_add_u32_e32 v22, s6, v30
	v_ashrrev_i32_e32 v23, 31, v22
	v_lshl_add_u64 v[22:23], v[22:23], 3, s[12:13]
	global_load_dwordx2 v[34:35], v[22:23], off
	v_add_u32_e32 v22, s6, v56
	v_ashrrev_i32_e32 v23, 31, v22
	v_lshl_add_u64 v[22:23], v[22:23], 3, s[12:13]
	global_load_dwordx2 v[22:23], v[22:23], off
	v_ashrrev_i32_e32 v31, 31, v30
	v_ashrrev_i32_e32 v57, 31, v56
	s_waitcnt vmcnt(1)
	v_add_f64 v[14:15], v[14:15], -v[34:35]
	v_fmac_f64_e32 v[10:11], s[2:3], v[14:15]
	v_add_u32_e32 v14, s7, v9
	v_subrev_u32_e32 v20, s6, v14
	s_waitcnt vmcnt(0)
	v_add_f64 v[38:39], v[34:35], -v[22:23]
	v_fmac_f64_e32 v[0:1], s[2:3], v[38:39]
	scratch_load_dwordx2 v[38:39], off, off offset:236 ; 8-byte Folded Reload
	v_ashrrev_i32_e32 v21, 31, v20
	v_lshl_add_u64 v[20:21], v[20:21], 3, s[18:19]
	v_ashrrev_i32_e32 v9, 31, v8
	v_ashrrev_i32_e32 v15, 31, v14
	v_lshl_add_u64 v[8:9], v[8:9], 3, s[12:13]
	v_add_f64 v[2:3], v[2:3], -v[22:23]
	s_waitcnt vmcnt(0)
	v_lshl_add_u64 v[38:39], s[18:19], 0, v[38:39]
	global_load_dwordx2 v[68:69], v[38:39], off
	v_mul_f64 v[38:39], v[40:41], v[92:93]
	s_waitcnt vmcnt(0)
	v_mul_f64 v[38:39], v[38:39], v[68:69]
	v_mul_f64 v[0:1], v[38:39], v[0:1]
	global_load_dwordx2 v[20:21], v[20:21], off
	s_nop 0
	scratch_load_dwordx2 v[38:39], off, off offset:192 ; 8-byte Folded Reload
	scratch_load_dwordx2 v[50:51], off, off offset:200 ; 8-byte Folded Reload
	s_waitcnt vmcnt(1)
	v_mul_f64 v[20:21], v[38:39], v[20:21]
	s_waitcnt vmcnt(0)
	v_mul_f64 v[20:21], v[50:51], v[20:21]
	v_mul_f64 v[34:35], v[10:11], v[20:21]
	;; [unrolled: 1-line block ×3, first 2 shown]
	v_lshl_add_u64 v[12:13], v[14:15], 3, s[18:19]
	v_add_f64 v[14:15], v[24:25], -v[16:17]
	global_load_dwordx2 v[16:17], v[8:9], off
	v_lshl_add_u64 v[8:9], v[30:31], 3, s[12:13]
	global_load_dwordx2 v[24:25], v[8:9], off
	v_mul_f64 v[8:9], v[14:15], s[0:1]
	global_load_dwordx2 v[12:13], v[12:13], off
	v_mul_f64 v[10:11], v[46:47], v[0:1]
	v_mul_f64 v[0:1], v[48:49], v[34:35]
	;; [unrolled: 1-line block ×3, first 2 shown]
	s_waitcnt vmcnt(1)
	v_add_f64 v[14:15], v[16:17], -v[24:25]
	v_fmac_f64_e32 v[8:9], s[2:3], v[14:15]
	v_add_f64 v[14:15], v[18:19], -v[72:73]
	v_lshl_add_u64 v[18:19], v[102:103], 3, s[12:13]
	global_load_dwordx2 v[18:19], v[18:19], off
	s_waitcnt vmcnt(1)
	v_mul_f64 v[12:13], v[38:39], v[12:13]
	v_mul_f64 v[12:13], v[50:51], v[12:13]
	v_fmac_f64_e32 v[0:1], v[8:9], v[12:13]
	v_fma_f64 v[8:9], v[110:111], v[122:123], 0
	v_mul_f64 v[12:13], v[88:89], v[90:91]
	v_mul_f64 v[14:15], v[14:15], s[0:1]
	v_fmac_f64_e32 v[8:9], v[78:79], v[124:125]
	v_fmac_f64_e32 v[8:9], v[110:111], v[126:127]
	;; [unrolled: 1-line block ×3, first 2 shown]
	s_waitcnt vmcnt(0)
	v_add_f64 v[16:17], v[16:17], -v[18:19]
	v_fmac_f64_e32 v[14:15], s[2:3], v[16:17]
	v_mul_f64 v[16:17], v[12:13], v[62:63]
	v_mul_f64 v[12:13], v[16:17], v[14:15]
	;; [unrolled: 1-line block ×3, first 2 shown]
	v_lshl_add_u64 v[20:21], v[56:57], 3, s[12:13]
	global_load_dwordx2 v[26:27], v[20:21], off
	v_fmac_f64_e32 v[14:15], v[110:111], v[12:13]
	v_mul_f64 v[12:13], v[82:83], v[84:85]
	v_mul_f64 v[60:61], v[12:13], v[68:69]
	s_waitcnt vmcnt(0)
	v_add_f64 v[20:21], v[24:25], -v[26:27]
	v_fmac_f64_e32 v[6:7], s[2:3], v[20:21]
	v_add_f64 v[20:21], v[4:5], -v[28:29]
	scratch_load_dword v4, off, off offset:184 ; 4-byte Folded Reload
	v_mul_f64 v[6:7], v[60:61], v[6:7]
	v_fmac_f64_e32 v[10:11], v[110:111], v[6:7]
	v_add_f64 v[6:7], v[14:15], -v[10:11]
	v_add_f64 v[18:19], v[18:19], -v[26:27]
	v_fmac_f64_e32 v[80:81], s[2:3], v[6:7]
	v_add_f64 v[6:7], v[120:121], -v[116:117]
	v_mul_f64 v[6:7], v[6:7], s[0:1]
	v_fmac_f64_e32 v[6:7], s[2:3], v[18:19]
	s_waitcnt vmcnt(0)
	v_add_u32_e32 v4, s7, v4
	v_ashrrev_i32_e32 v5, 31, v4
	v_lshl_add_u64 v[10:11], v[4:5], 3, s[18:19]
	v_subrev_u32_e32 v4, s6, v4
	v_ashrrev_i32_e32 v5, 31, v4
	v_lshl_add_u64 v[4:5], v[4:5], 3, s[18:19]
	global_load_dwordx2 v[10:11], v[10:11], off
	s_nop 0
	global_load_dwordx2 v[4:5], v[4:5], off
	s_nop 0
	scratch_load_dwordx2 v[12:13], off, off offset:160 ; 8-byte Folded Reload
	scratch_load_dword v36, off, off offset:180 ; 4-byte Folded Reload
	s_waitcnt vmcnt(1)
	v_mul_f64 v[10:11], v[12:13], v[10:11]
	v_mul_f64 v[4:5], v[12:13], v[4:5]
	scratch_load_dwordx2 v[12:13], off, off offset:152 ; 8-byte Folded Reload
	s_waitcnt vmcnt(1)
	v_add3_u32 v14, v36, v37, s5
	v_ashrrev_i32_e32 v15, 31, v14
	s_waitcnt vmcnt(0)
	v_mul_f64 v[24:25], v[12:13], v[10:11]
	v_add_f64 v[10:11], v[114:115], -v[112:113]
	v_mul_f64 v[10:11], v[10:11], s[0:1]
	v_mul_f64 v[4:5], v[12:13], v[4:5]
	v_fmac_f64_e32 v[10:11], s[2:3], v[2:3]
	v_mul_f64 v[2:3], v[10:11], v[4:5]
	v_lshl_add_u64 v[4:5], v[14:15], 3, s[12:13]
	global_load_dwordx2 v[4:5], v[4:5], off
	s_nop 0
	scratch_load_dword v30, off, off offset:168 ; 4-byte Folded Reload
	v_subrev_u32_e32 v14, s4, v14
	v_ashrrev_i32_e32 v15, 31, v14
	v_lshl_add_u64 v[14:15], v[14:15], 3, s[12:13]
	v_mul_f64 v[2:3], v[98:99], v[2:3]
	v_fmac_f64_e32 v[2:3], v[6:7], v[24:25]
	v_add_f64 v[0:1], v[0:1], -v[2:3]
	v_mov_b32_e32 v25, v36
	s_waitcnt vmcnt(0)
	v_add3_u32 v22, v30, v37, s5
	v_ashrrev_i32_e32 v23, 31, v22
	v_lshl_add_u64 v[10:11], v[22:23], 3, s[12:13]
	global_load_dwordx2 v[34:35], v[10:11], off
	scratch_load_dword v31, off, off offset:176 ; 4-byte Folded Reload
	v_mov_b32_e32 v24, v30
	s_waitcnt vmcnt(1)
	v_add_f64 v[2:3], v[4:5], -v[34:35]
	s_waitcnt vmcnt(0)
	v_add3_u32 v26, v31, v37, s5
	v_ashrrev_i32_e32 v27, 31, v26
	v_lshl_add_u64 v[10:11], v[26:27], 3, s[12:13]
	global_load_dwordx2 v[12:13], v[10:11], off
	scratch_load_dword v23, off, off offset:172 ; 4-byte Folded Reload
	global_load_dwordx2 v[102:103], v[14:15], off
	v_subrev_u32_e32 v14, s4, v22
	v_ashrrev_i32_e32 v15, 31, v14
	v_lshl_add_u64 v[14:15], v[14:15], 3, s[12:13]
	global_load_dwordx2 v[56:57], v[14:15], off
	v_subrev_u32_e32 v14, s4, v26
	v_ashrrev_i32_e32 v15, 31, v14
	v_lshl_add_u64 v[14:15], v[14:15], 3, s[12:13]
	global_load_dwordx2 v[48:49], v[14:15], off
	v_mul_f64 v[2:3], v[2:3], s[0:1]
	v_mov_b32_e32 v26, v31
	s_waitcnt vmcnt(3)
	v_add3_u32 v28, v23, v37, s5
	v_ashrrev_i32_e32 v29, 31, v28
	v_lshl_add_u64 v[10:11], v[28:29], 3, s[12:13]
	global_load_dwordx2 v[10:11], v[10:11], off
	v_subrev_u32_e32 v14, s4, v28
	v_ashrrev_i32_e32 v15, 31, v14
	v_lshl_add_u64 v[14:15], v[14:15], 3, s[12:13]
	global_load_dwordx2 v[46:47], v[14:15], off
	v_mul_f64 v[14:15], v[20:21], s[0:1]
	v_fmac_f64_e32 v[14:15], s[2:3], v[0:1]
	v_mul_f64 v[0:1], v[76:77], v[86:87]
	v_mul_f64 v[0:1], v[0:1], v[108:109]
	v_fmac_f64_e32 v[80:81], v[110:111], v[14:15]
	v_mov_b32_e32 v28, v23
	s_waitcnt vmcnt(1)
	v_add_f64 v[6:7], v[12:13], -v[10:11]
	v_fmac_f64_e32 v[2:3], s[2:3], v[6:7]
	v_mul_f64 v[0:1], v[0:1], v[2:3]
	v_add_f64 v[2:3], v[102:103], -v[56:57]
	v_mul_f64 v[2:3], v[2:3], s[0:1]
	s_waitcnt vmcnt(0)
	v_add_f64 v[6:7], v[48:49], -v[46:47]
	v_fmac_f64_e32 v[2:3], s[2:3], v[6:7]
	v_add3_u32 v6, v36, v33, s5
	v_ashrrev_i32_e32 v7, 31, v6
	v_lshl_add_u64 v[14:15], v[6:7], 3, s[12:13]
	v_subrev_u32_e32 v6, s4, v6
	v_ashrrev_i32_e32 v7, 31, v6
	v_lshl_add_u64 v[6:7], v[6:7], 3, s[12:13]
	global_load_dwordx2 v[88:89], v[14:15], off
	global_load_dwordx2 v[86:87], v[6:7], off
	v_add3_u32 v14, v30, v33, s5
	v_ashrrev_i32_e32 v15, 31, v14
	v_lshl_add_u64 v[18:19], v[14:15], 3, s[12:13]
	global_load_dwordx2 v[76:77], v[18:19], off
	v_add3_u32 v18, v31, v33, s5
	v_subrev_u32_e32 v6, s4, v14
	v_subrev_u32_e32 v14, s4, v18
	v_ashrrev_i32_e32 v19, 31, v18
	v_ashrrev_i32_e32 v7, 31, v6
	;; [unrolled: 1-line block ×3, first 2 shown]
	v_lshl_add_u64 v[20:21], v[18:19], 3, s[12:13]
	v_lshl_add_u64 v[6:7], v[6:7], 3, s[12:13]
	;; [unrolled: 1-line block ×3, first 2 shown]
	global_load_dwordx2 v[72:73], v[20:21], off
	global_load_dwordx2 v[84:85], v[14:15], off
	v_add3_u32 v20, v23, v33, s5
	global_load_dwordx2 v[6:7], v[6:7], off
	v_ashrrev_i32_e32 v21, 31, v20
	v_lshl_add_u64 v[22:23], v[20:21], 3, s[12:13]
	global_load_dwordx2 v[70:71], v[22:23], off
	v_subrev_u32_e32 v14, s4, v20
	v_ashrrev_i32_e32 v15, 31, v14
	v_lshl_add_u64 v[14:15], v[14:15], 3, s[12:13]
	global_load_dwordx2 v[82:83], v[14:15], off
	v_mul_f64 v[2:3], v[100:101], v[2:3]
	v_mul_f64 v[0:1], v[42:43], v[0:1]
	;; [unrolled: 1-line block ×3, first 2 shown]
	v_fmac_f64_e32 v[2:3], v[78:79], v[0:1]
	v_mul_f64 v[0:1], v[52:53], v[74:75]
	v_mul_f64 v[0:1], v[0:1], v[118:119]
	v_add3_u32 v20, v28, v32, s5
	v_ashrrev_i32_e32 v21, 31, v20
	v_add3_u32 v28, v28, v58, s5
	v_ashrrev_i32_e32 v29, 31, v28
	s_waitcnt vmcnt(7)
	v_add_f64 v[4:5], v[4:5], -v[88:89]
	v_mul_f64 v[4:5], v[4:5], s[0:1]
	s_waitcnt vmcnt(5)
	v_add_f64 v[14:15], v[88:89], -v[76:77]
	v_mul_f64 v[14:15], v[14:15], s[0:1]
	s_waitcnt vmcnt(1)
	v_add_f64 v[18:19], v[72:73], -v[70:71]
	v_fmac_f64_e32 v[14:15], s[2:3], v[18:19]
	v_mul_f64 v[0:1], v[0:1], v[14:15]
	v_add_f64 v[14:15], v[86:87], -v[6:7]
	v_mul_f64 v[14:15], v[14:15], s[0:1]
	s_waitcnt vmcnt(0)
	v_add_f64 v[18:19], v[84:85], -v[82:83]
	v_fmac_f64_e32 v[14:15], s[2:3], v[18:19]
	v_mul_f64 v[14:15], v[106:107], v[14:15]
	v_mul_f64 v[0:1], v[42:43], v[0:1]
	;; [unrolled: 1-line block ×3, first 2 shown]
	v_fmac_f64_e32 v[14:15], v[78:79], v[0:1]
	v_add_f64 v[0:1], v[2:3], -v[14:15]
	v_fmac_f64_e32 v[80:81], s[0:1], v[0:1]
	v_add3_u32 v0, v25, v32, s5
	v_ashrrev_i32_e32 v1, 31, v0
	v_lshl_add_u64 v[2:3], v[0:1], 3, s[12:13]
	v_subrev_u32_e32 v0, s4, v0
	v_ashrrev_i32_e32 v1, 31, v0
	v_lshl_add_u64 v[0:1], v[0:1], 3, s[12:13]
	global_load_dwordx2 v[92:93], v[2:3], off
	global_load_dwordx2 v[98:99], v[0:1], off
	v_add3_u32 v2, v24, v32, s5
	v_subrev_u32_e32 v0, s4, v2
	v_ashrrev_i32_e32 v3, 31, v2
	v_ashrrev_i32_e32 v1, 31, v0
	v_lshl_add_u64 v[14:15], v[2:3], 3, s[12:13]
	v_lshl_add_u64 v[0:1], v[0:1], 3, s[12:13]
	global_load_dwordx2 v[74:75], v[14:15], off
	global_load_dwordx2 v[96:97], v[0:1], off
	v_add3_u32 v14, v26, v32, s5
	v_subrev_u32_e32 v0, s4, v14
	v_ashrrev_i32_e32 v15, 31, v14
	v_ashrrev_i32_e32 v1, 31, v0
	v_lshl_add_u64 v[18:19], v[14:15], 3, s[12:13]
	v_lshl_add_u64 v[0:1], v[0:1], 3, s[12:13]
	global_load_dwordx2 v[52:53], v[18:19], off
	global_load_dwordx2 v[94:95], v[0:1], off
	v_lshl_add_u64 v[18:19], v[20:21], 3, s[12:13]
	global_load_dwordx2 v[18:19], v[18:19], off
	v_subrev_u32_e32 v0, s4, v20
	v_ashrrev_i32_e32 v1, 31, v0
	v_lshl_add_u64 v[0:1], v[0:1], 3, s[12:13]
	global_load_dwordx2 v[90:91], v[0:1], off
	v_mul_f64 v[0:1], v[54:55], v[66:67]
	v_mul_f64 v[0:1], v[0:1], v[62:63]
	v_add3_u32 v24, v24, v58, s5
	v_add3_u32 v26, v26, v58, s5
	v_ashrrev_i32_e32 v27, 31, v26
	v_add_f64 v[6:7], v[56:57], -v[6:7]
	v_mul_f64 v[6:7], v[6:7], s[0:1]
	v_add_f64 v[10:11], v[10:11], -v[70:71]
	v_mul_f64 v[10:11], v[10:11], s[0:1]
	s_waitcnt vmcnt(5)
	v_add_f64 v[2:3], v[92:93], -v[74:75]
	v_mul_f64 v[2:3], v[2:3], s[0:1]
	s_waitcnt vmcnt(1)
	v_add_f64 v[14:15], v[52:53], -v[18:19]
	v_fmac_f64_e32 v[2:3], s[2:3], v[14:15]
	v_mul_f64 v[0:1], v[0:1], v[2:3]
	v_add_f64 v[2:3], v[98:99], -v[96:97]
	v_mul_f64 v[2:3], v[2:3], s[0:1]
	s_waitcnt vmcnt(0)
	v_add_f64 v[14:15], v[94:95], -v[90:91]
	v_fmac_f64_e32 v[2:3], s[2:3], v[14:15]
	v_mul_f64 v[2:3], v[16:17], v[2:3]
	v_mul_f64 v[0:1], v[42:43], v[0:1]
	;; [unrolled: 1-line block ×3, first 2 shown]
	v_add3_u32 v14, v25, v58, s5
	v_fmac_f64_e32 v[62:63], v[78:79], v[0:1]
	v_mul_f64 v[0:1], v[40:41], v[64:65]
	v_ashrrev_i32_e32 v15, 31, v14
	v_mul_f64 v[22:23], v[0:1], v[68:69]
	v_lshl_add_u64 v[0:1], v[14:15], 3, s[12:13]
	v_subrev_u32_e32 v14, s4, v14
	v_ashrrev_i32_e32 v25, 31, v24
	v_ashrrev_i32_e32 v15, 31, v14
	v_lshl_add_u64 v[2:3], v[24:25], 3, s[12:13]
	v_lshl_add_u64 v[14:15], v[14:15], 3, s[12:13]
	global_load_dwordx2 v[0:1], v[0:1], off
	s_nop 0
	global_load_dwordx2 v[20:21], v[2:3], off
	global_load_dwordx2 v[54:55], v[14:15], off
	v_subrev_u32_e32 v14, s4, v24
	v_ashrrev_i32_e32 v15, 31, v14
	v_lshl_add_u64 v[2:3], v[26:27], 3, s[12:13]
	v_lshl_add_u64 v[14:15], v[14:15], 3, s[12:13]
	global_load_dwordx2 v[16:17], v[2:3], off
	global_load_dwordx2 v[50:51], v[14:15], off
	v_lshl_add_u64 v[2:3], v[28:29], 3, s[12:13]
	global_load_dwordx2 v[2:3], v[2:3], off
	v_subrev_u32_e32 v14, s4, v26
	v_ashrrev_i32_e32 v15, 31, v14
	v_lshl_add_u64 v[14:15], v[14:15], 3, s[12:13]
	global_load_dwordx2 v[24:25], v[14:15], off
	v_subrev_u32_e32 v14, s4, v28
	v_ashrrev_i32_e32 v15, 31, v14
	v_lshl_add_u64 v[14:15], v[14:15], 3, s[12:13]
	s_waitcnt vmcnt(5)
	v_add_f64 v[30:31], v[0:1], -v[20:21]
	v_mul_f64 v[30:31], v[30:31], s[0:1]
	v_add_f64 v[0:1], v[92:93], -v[0:1]
	v_fmac_f64_e32 v[4:5], s[2:3], v[0:1]
	v_add_f64 v[20:21], v[74:75], -v[20:21]
	s_waitcnt vmcnt(1)
	v_add_f64 v[32:33], v[16:17], -v[2:3]
	v_fmac_f64_e32 v[30:31], s[2:3], v[32:33]
	v_mul_f64 v[30:31], v[22:23], v[30:31]
	global_load_dwordx2 v[22:23], v[14:15], off
	v_add_f64 v[14:15], v[54:55], -v[50:51]
	v_mul_f64 v[14:15], v[14:15], s[0:1]
	v_add_f64 v[2:3], v[18:19], -v[2:3]
	v_fmac_f64_e32 v[10:11], s[2:3], v[2:3]
	s_waitcnt vmcnt(0)
	v_add_f64 v[26:27], v[24:25], -v[22:23]
	v_fmac_f64_e32 v[14:15], s[2:3], v[26:27]
	v_mul_f64 v[14:15], v[60:61], v[14:15]
	v_mul_f64 v[26:27], v[42:43], v[30:31]
	;; [unrolled: 1-line block ×3, first 2 shown]
	v_fmac_f64_e32 v[14:15], v[78:79], v[26:27]
	scratch_load_dwordx2 v[26:27], off, off offset:136 ; 8-byte Folded Reload
	v_add_f64 v[60:61], v[62:63], -v[14:15]
	v_fmac_f64_e32 v[80:81], s[2:3], v[60:61]
	s_waitcnt vmcnt(0)
	v_lshl_add_u64 v[26:27], s[18:19], 0, v[26:27]
	global_load_dwordx2 v[26:27], v[26:27], off
	s_nop 0
	scratch_load_dword v28, off, off offset:120 ; 4-byte Folded Reload
	s_waitcnt vmcnt(0)
	v_add_u32_e32 v28, s7, v28
	v_ashrrev_i32_e32 v29, 31, v28
	v_lshl_add_u64 v[28:29], v[28:29], 3, s[18:19]
	global_load_dwordx2 v[28:29], v[28:29], off
	s_nop 0
	scratch_load_dwordx2 v[30:31], off, off offset:128 ; 8-byte Folded Reload
	scratch_load_dword v14, off, off offset:124 ; 4-byte Folded Reload
	s_waitcnt vmcnt(1)
	v_lshl_add_u64 v[30:31], s[18:19], 0, v[30:31]
	s_waitcnt vmcnt(0)
	v_add_u32_e32 v14, s7, v14
	v_ashrrev_i32_e32 v15, 31, v14
	v_lshl_add_u64 v[14:15], v[14:15], 3, s[18:19]
	global_load_dwordx2 v[30:31], v[30:31], off
	s_nop 0
	global_load_dwordx2 v[42:43], v[14:15], off
	s_nop 0
	scratch_load_dwordx2 v[14:15], off, off offset:112 ; 8-byte Folded Reload
	s_waitcnt vmcnt(0)
	v_lshl_add_u64 v[14:15], s[18:19], 0, v[14:15]
	global_load_dwordx2 v[32:33], v[14:15], off
	s_nop 0
	scratch_load_dword v14, off, off offset:100 ; 4-byte Folded Reload
	s_waitcnt vmcnt(0)
	v_add_u32_e32 v14, s7, v14
	v_ashrrev_i32_e32 v15, 31, v14
	v_lshl_add_u64 v[14:15], v[14:15], 3, s[18:19]
	global_load_dwordx2 v[14:15], v[14:15], off
	s_nop 0
	scratch_load_dwordx2 v[36:37], off, off offset:104 ; 8-byte Folded Reload
	scratch_load_dword v38, off, off offset:72 ; 4-byte Folded Reload
	scratch_load_dwordx2 v[40:41], off, off offset:144 ; 8-byte Folded Reload
	s_waitcnt vmcnt(2)
	v_lshl_add_u64 v[36:37], s[18:19], 0, v[36:37]
	s_waitcnt vmcnt(1)
	v_add_u32_e32 v38, s7, v38
	v_ashrrev_i32_e32 v39, 31, v38
	v_lshl_add_u64 v[38:39], v[38:39], 3, s[18:19]
	s_waitcnt vmcnt(0)
	v_lshl_add_u64 v[40:41], s[26:27], 0, v[40:41]
	global_load_dwordx2 v[36:37], v[36:37], off
	s_nop 0
	global_load_dwordx2 v[38:39], v[38:39], off
	s_nop 0
	global_load_dwordx2 v[60:61], v[40:41], off
	scratch_load_dwordx2 v[62:63], off, off offset:84 ; 8-byte Folded Reload
	scratch_load_dwordx2 v[64:65], off, off offset:92 ; 8-byte Folded Reload
	s_waitcnt vmcnt(1)
	v_mul_f64 v[26:27], v[62:63], v[26:27]
	s_waitcnt vmcnt(0)
	v_mul_f64 v[26:27], v[64:65], v[26:27]
	v_mul_f64 v[0:1], v[4:5], v[26:27]
	v_add_f64 v[26:27], v[102:103], -v[86:87]
	v_mul_f64 v[4:5], v[62:63], v[28:29]
	v_mul_f64 v[26:27], v[26:27], s[0:1]
	v_add_f64 v[28:29], v[98:99], -v[54:55]
	v_mul_f64 v[4:5], v[64:65], v[4:5]
	v_fmac_f64_e32 v[26:27], s[2:3], v[28:29]
	v_mul_f64 v[4:5], v[26:27], v[4:5]
	scratch_load_dwordx2 v[26:27], off, off offset:76 ; 8-byte Folded Reload
	scratch_load_dwordx2 v[28:29], off, off offset:48 ; 8-byte Folded Reload
	s_waitcnt vmcnt(1)
	v_fmac_f64_e32 v[4:5], v[26:27], v[0:1]
	s_waitcnt vmcnt(0)
	v_mul_f64 v[0:1], v[28:29], v[30:31]
	scratch_load_dwordx2 v[30:31], off, off offset:40 ; 8-byte Folded Reload
	v_add_f64 v[26:27], v[34:35], -v[76:77]
	v_mul_f64 v[26:27], v[26:27], s[0:1]
	v_fmac_f64_e32 v[26:27], s[2:3], v[20:21]
	v_mul_f64 v[20:21], v[28:29], v[42:43]
	s_waitcnt vmcnt(0)
	v_mul_f64 v[0:1], v[30:31], v[0:1]
	v_mul_f64 v[0:1], v[26:27], v[0:1]
	v_add_f64 v[26:27], v[96:97], -v[50:51]
	v_fmac_f64_e32 v[6:7], s[2:3], v[26:27]
	scratch_load_dwordx4 v[26:29], off, off offset:56 ; 16-byte Folded Reload
	v_mul_f64 v[20:21], v[30:31], v[20:21]
	v_mul_f64 v[6:7], v[6:7], v[20:21]
	scratch_load_dwordx2 v[20:21], off, off offset:24 ; 8-byte Folded Reload
	s_waitcnt vmcnt(1)
	v_fmac_f64_e32 v[6:7], v[26:27], v[0:1]
	scratch_load_dwordx2 v[26:27], off, off offset:32 ; 8-byte Folded Reload
	v_add_f64 v[0:1], v[4:5], -v[6:7]
	v_add_f64 v[6:7], v[12:13], -v[72:73]
	s_waitcnt vmcnt(1)
	v_mul_f64 v[4:5], v[20:21], v[32:33]
	v_mul_f64 v[6:7], v[6:7], s[0:1]
	v_add_f64 v[12:13], v[52:53], -v[16:17]
	v_fmac_f64_e32 v[6:7], s[2:3], v[12:13]
	v_add_f64 v[12:13], v[48:49], -v[84:85]
	v_mul_f64 v[12:13], v[12:13], s[0:1]
	v_mul_f64 v[0:1], v[0:1], s[0:1]
	s_waitcnt vmcnt(0)
	v_mul_f64 v[4:5], v[26:27], v[4:5]
	v_mul_f64 v[4:5], v[6:7], v[4:5]
	;; [unrolled: 1-line block ×3, first 2 shown]
	v_add_f64 v[14:15], v[94:95], -v[24:25]
	v_mul_f64 v[6:7], v[26:27], v[6:7]
	v_fmac_f64_e32 v[12:13], s[2:3], v[14:15]
	v_mul_f64 v[6:7], v[12:13], v[6:7]
	scratch_load_dwordx2 v[12:13], off, off offset:16 ; 8-byte Folded Reload
	scratch_load_dwordx2 v[14:15], off, off offset:8 ; 8-byte Folded Reload
	v_fmac_f64_e32 v[6:7], v[44:45], v[4:5]
	s_waitcnt vmcnt(1)
	v_mul_f64 v[4:5], v[12:13], v[36:37]
	s_waitcnt vmcnt(0)
	v_mul_f64 v[4:5], v[14:15], v[4:5]
	v_mul_f64 v[2:3], v[10:11], v[4:5]
	v_add_f64 v[10:11], v[46:47], -v[82:83]
	v_mul_f64 v[4:5], v[12:13], v[38:39]
	v_mul_f64 v[10:11], v[10:11], s[0:1]
	v_add_f64 v[12:13], v[90:91], -v[22:23]
	v_mul_f64 v[4:5], v[14:15], v[4:5]
	v_fmac_f64_e32 v[10:11], s[2:3], v[12:13]
	v_mul_f64 v[4:5], v[10:11], v[4:5]
	v_fmac_f64_e32 v[4:5], v[28:29], v[2:3]
	v_add_f64 v[2:3], v[6:7], -v[4:5]
	v_fmac_f64_e32 v[0:1], s[2:3], v[2:3]
	scratch_load_dwordx2 v[2:3], off, off   ; 8-byte Folded Reload
	v_fmac_f64_e32 v[80:81], v[78:79], v[0:1]
	v_add_f64 v[0:1], v[8:9], v[80:81]
	v_mul_f64 v[0:1], s[10:11], v[0:1]
	s_waitcnt vmcnt(0)
	v_mul_f64 v[0:1], v[2:3], v[0:1]
	v_fmac_f64_e32 v[0:1], s[8:9], v[60:61]
	global_store_dwordx2 v[40:41], v[0:1], off
.LBB3_2:
	s_endpgm
	.section	.rodata,"a",@progbits
	.p2align	6, 0x0
	.amdhsa_kernel _Z7kernel4iiiiiiiiiiiiddPKdS0_S0_S0_S0_PdS0_S0_S0_S0_S0_S0_S0_
		.amdhsa_group_segment_fixed_size 0
		.amdhsa_private_segment_fixed_size 248
		.amdhsa_kernarg_size 424
		.amdhsa_user_sgpr_count 2
		.amdhsa_user_sgpr_dispatch_ptr 0
		.amdhsa_user_sgpr_queue_ptr 0
		.amdhsa_user_sgpr_kernarg_segment_ptr 1
		.amdhsa_user_sgpr_dispatch_id 0
		.amdhsa_user_sgpr_kernarg_preload_length 0
		.amdhsa_user_sgpr_kernarg_preload_offset 0
		.amdhsa_user_sgpr_private_segment_size 0
		.amdhsa_uses_dynamic_stack 0
		.amdhsa_enable_private_segment 1
		.amdhsa_system_sgpr_workgroup_id_x 1
		.amdhsa_system_sgpr_workgroup_id_y 1
		.amdhsa_system_sgpr_workgroup_id_z 1
		.amdhsa_system_sgpr_workgroup_info 0
		.amdhsa_system_vgpr_workitem_id 2
		.amdhsa_next_free_vgpr 128
		.amdhsa_next_free_sgpr 32
		.amdhsa_accum_offset 128
		.amdhsa_reserve_vcc 1
		.amdhsa_float_round_mode_32 0
		.amdhsa_float_round_mode_16_64 0
		.amdhsa_float_denorm_mode_32 3
		.amdhsa_float_denorm_mode_16_64 3
		.amdhsa_dx10_clamp 1
		.amdhsa_ieee_mode 1
		.amdhsa_fp16_overflow 0
		.amdhsa_tg_split 0
		.amdhsa_exception_fp_ieee_invalid_op 0
		.amdhsa_exception_fp_denorm_src 0
		.amdhsa_exception_fp_ieee_div_zero 0
		.amdhsa_exception_fp_ieee_overflow 0
		.amdhsa_exception_fp_ieee_underflow 0
		.amdhsa_exception_fp_ieee_inexact 0
		.amdhsa_exception_int_div_zero 0
	.end_amdhsa_kernel
	.text
.Lfunc_end3:
	.size	_Z7kernel4iiiiiiiiiiiiddPKdS0_S0_S0_S0_PdS0_S0_S0_S0_S0_S0_S0_, .Lfunc_end3-_Z7kernel4iiiiiiiiiiiiddPKdS0_S0_S0_S0_PdS0_S0_S0_S0_S0_S0_S0_
                                        ; -- End function
	.set _Z7kernel4iiiiiiiiiiiiddPKdS0_S0_S0_S0_PdS0_S0_S0_S0_S0_S0_S0_.num_vgpr, 128
	.set _Z7kernel4iiiiiiiiiiiiddPKdS0_S0_S0_S0_PdS0_S0_S0_S0_S0_S0_S0_.num_agpr, 0
	.set _Z7kernel4iiiiiiiiiiiiddPKdS0_S0_S0_S0_PdS0_S0_S0_S0_S0_S0_S0_.numbered_sgpr, 32
	.set _Z7kernel4iiiiiiiiiiiiddPKdS0_S0_S0_S0_PdS0_S0_S0_S0_S0_S0_S0_.num_named_barrier, 0
	.set _Z7kernel4iiiiiiiiiiiiddPKdS0_S0_S0_S0_PdS0_S0_S0_S0_S0_S0_S0_.private_seg_size, 248
	.set _Z7kernel4iiiiiiiiiiiiddPKdS0_S0_S0_S0_PdS0_S0_S0_S0_S0_S0_S0_.uses_vcc, 1
	.set _Z7kernel4iiiiiiiiiiiiddPKdS0_S0_S0_S0_PdS0_S0_S0_S0_S0_S0_S0_.uses_flat_scratch, 0
	.set _Z7kernel4iiiiiiiiiiiiddPKdS0_S0_S0_S0_PdS0_S0_S0_S0_S0_S0_S0_.has_dyn_sized_stack, 0
	.set _Z7kernel4iiiiiiiiiiiiddPKdS0_S0_S0_S0_PdS0_S0_S0_S0_S0_S0_S0_.has_recursion, 0
	.set _Z7kernel4iiiiiiiiiiiiddPKdS0_S0_S0_S0_PdS0_S0_S0_S0_S0_S0_S0_.has_indirect_call, 0
	.section	.AMDGPU.csdata,"",@progbits
; Kernel info:
; codeLenInByte = 9068
; TotalNumSgprs: 38
; NumVgprs: 128
; NumAgprs: 0
; TotalNumVgprs: 128
; ScratchSize: 248
; MemoryBound: 0
; FloatMode: 240
; IeeeMode: 1
; LDSByteSize: 0 bytes/workgroup (compile time only)
; SGPRBlocks: 4
; VGPRBlocks: 15
; NumSGPRsForWavesPerEU: 38
; NumVGPRsForWavesPerEU: 128
; AccumOffset: 128
; Occupancy: 4
; WaveLimiterHint : 0
; COMPUTE_PGM_RSRC2:SCRATCH_EN: 1
; COMPUTE_PGM_RSRC2:USER_SGPR: 2
; COMPUTE_PGM_RSRC2:TRAP_HANDLER: 0
; COMPUTE_PGM_RSRC2:TGID_X_EN: 1
; COMPUTE_PGM_RSRC2:TGID_Y_EN: 1
; COMPUTE_PGM_RSRC2:TGID_Z_EN: 1
; COMPUTE_PGM_RSRC2:TIDIG_COMP_CNT: 2
; COMPUTE_PGM_RSRC3_GFX90A:ACCUM_OFFSET: 31
; COMPUTE_PGM_RSRC3_GFX90A:TG_SPLIT: 0
	.text
	.protected	_Z7kernel5iiiiiiiiiiiiiddPKdS0_S0_S0_S0_PdS0_S0_S0_S0_S0_S0_S0_ ; -- Begin function _Z7kernel5iiiiiiiiiiiiiddPKdS0_S0_S0_S0_PdS0_S0_S0_S0_S0_S0_S0_
	.globl	_Z7kernel5iiiiiiiiiiiiiddPKdS0_S0_S0_S0_PdS0_S0_S0_S0_S0_S0_S0_
	.p2align	8
	.type	_Z7kernel5iiiiiiiiiiiiiddPKdS0_S0_S0_S0_PdS0_S0_S0_S0_S0_S0_S0_,@function
_Z7kernel5iiiiiiiiiiiiiddPKdS0_S0_S0_S0_PdS0_S0_S0_S0_S0_S0_S0_: ; @_Z7kernel5iiiiiiiiiiiiiddPKdS0_S0_S0_S0_PdS0_S0_S0_S0_S0_S0_S0_
; %bb.0:
	s_load_dwordx8 s[12:19], s[0:1], 0x0
	s_load_dwordx2 s[6:7], s[0:1], 0xbc
	v_and_b32_e32 v51, 0x3ff, v0
	v_bfe_u32 v1, v0, 10, 10
	v_bfe_u32 v0, v0, 20, 10
	s_waitcnt lgkmcnt(0)
	v_add_u32_e32 v40, s12, v51
	s_and_b32 s5, s7, 0xffff
	s_lshr_b32 s7, s6, 16
	s_and_b32 s6, s6, 0xffff
	s_mul_i32 s33, s2, s6
	v_add_u32_e32 v48, s14, v1
	s_mul_i32 s37, s3, s7
	s_mul_i32 s2, s4, s5
	v_add_u32_e32 v10, s33, v40
	v_add_u32_e32 v12, s37, v48
	s_add_i32 s2, s2, s16
	v_add_u32_e32 v41, s2, v0
	v_cmp_gt_i32_e32 vcc, s13, v10
	v_cmp_gt_i32_e64 s[2:3], s15, v12
	s_and_b64 s[2:3], vcc, s[2:3]
	v_cmp_gt_i32_e32 vcc, s17, v41
	s_and_b64 s[2:3], s[2:3], vcc
	s_and_saveexec_b64 s[4:5], s[2:3]
	s_cbranch_execz .LBB4_13
; %bb.1:
	s_load_dwordx8 s[20:27], s[0:1], 0x90
	s_load_dwordx8 s[4:11], s[0:1], 0x48
	s_load_dwordx4 s[28:31], s[0:1], 0x20
	s_sub_i32 s35, s19, s18
	s_not_b32 s2, s35
	s_add_i32 s35, s35, 1
	v_subrev_u32_e32 v0, s18, v10
	s_waitcnt lgkmcnt(0)
	s_sub_i32 s38, s29, s28
	s_add_i32 s38, s38, 1
	v_subrev_u32_e32 v4, s28, v12
	s_mul_i32 s34, s38, s35
	v_ashrrev_i32_e32 v1, 31, v0
	v_ashrrev_i32_e32 v5, 31, v4
	s_mul_i32 s13, s28, s2
	s_mul_i32 s2, s34, s30
	v_lshl_add_u64 v[14:15], v[0:1], 3, s[24:25]
	v_lshl_add_u64 v[16:17], v[4:5], 3, s[26:27]
	s_add_i32 s2, s18, s2
	global_load_dwordx4 v[0:3], v[14:15], off
	global_load_dwordx4 v[108:111], v[14:15], off offset:-16
	global_load_dwordx4 v[4:7], v[16:17], off
	s_sub_i32 s3, s13, s2
	v_mul_lo_u32 v18, v12, s35
	v_mul_lo_u32 v22, v41, s34
	v_add_u32_e32 v11, -2, v10
	v_add3_u32 v13, v22, v18, s3
	s_sub_i32 s2, s31, s30
	v_add_u32_e32 v20, v13, v11
	s_add_i32 s2, s2, 1
	v_ashrrev_i32_e32 v21, 31, v20
	s_mul_i32 s2, s2, s34
	v_lshlrev_b64 v[20:21], 3, v[20:21]
	s_sub_i32 s28, s3, s2
	scratch_store_dword off, v11, off offset:72 ; 4-byte Folded Spill
	v_lshl_add_u64 v[24:25], s[6:7], 0, v[20:21]
	v_lshl_add_u64 v[20:21], s[8:9], 0, v[20:21]
	s_ashr_i32 s29, s28, 31
	v_ashrrev_i32_e32 v11, 31, v10
	global_load_dwordx2 v[60:61], v[20:21], off
	v_ashrrev_i32_e32 v19, 31, v18
	v_lshl_add_u64 v[20:21], v[10:11], 0, s[28:29]
	v_ashrrev_i32_e32 v23, 31, v22
	v_lshl_add_u64 v[20:21], v[20:21], 0, v[18:19]
	v_add_u32_e32 v49, s3, v10
	s_ashr_i32 s3, s2, 31
	v_lshl_add_u64 v[20:21], v[20:21], 0, v[22:23]
	v_lshl_add_u64 v[20:21], v[20:21], 0, s[2:3]
	v_add_u32_e32 v46, 1, v10
	v_lshl_add_u64 v[20:21], v[20:21], 3, s[10:11]
	v_add_u32_e32 v11, -1, v10
	v_add_u32_e32 v30, v13, v46
	v_add_u32_e32 v42, v18, v49
	global_load_dwordx4 v[96:99], v[20:21], off offset:-16
	v_add_u32_e32 v20, v13, v11
	v_add_u32_e32 v23, s28, v10
	v_ashrrev_i32_e32 v31, 31, v30
	v_add_u32_e32 v8, v42, v22
	v_ashrrev_i32_e32 v21, 31, v20
	v_add_u32_e32 v26, v18, v23
	v_lshlrev_b64 v[30:31], 3, v[30:31]
	v_ashrrev_i32_e32 v9, 31, v8
	v_lshlrev_b64 v[20:21], 3, v[20:21]
	v_add_u32_e32 v44, v26, v22
	v_lshl_add_u64 v[32:33], s[6:7], 0, v[30:31]
	v_lshlrev_b64 v[8:9], 3, v[8:9]
	global_load_dwordx2 v[122:123], v[24:25], off
	global_load_dwordx2 v[104:105], v[32:33], off
	v_lshl_add_u64 v[24:25], s[6:7], 0, v[20:21]
	v_lshl_add_u64 v[20:21], s[8:9], 0, v[20:21]
	v_add_u32_e32 v18, s2, v44
	global_load_dwordx2 v[62:63], v[20:21], off
	v_lshl_add_u64 v[20:21], s[6:7], 0, v[8:9]
	v_ashrrev_i32_e32 v19, 31, v18
	v_add_u32_e32 v52, 2, v10
	global_load_dwordx2 v[124:125], v[24:25], off
	global_load_dwordx2 v[28:29], v[20:21], off
	v_lshl_add_u64 v[20:21], s[8:9], 0, v[8:9]
	scratch_store_dwordx2 off, v[18:19], off offset:312 ; 8-byte Folded Spill
	v_lshlrev_b64 v[18:19], 3, v[18:19]
	v_lshl_add_u64 v[30:31], s[8:9], 0, v[30:31]
	v_add_u32_e32 v10, v13, v52
	scratch_store_dword off, v11, off offset:80 ; 4-byte Folded Spill
	global_load_dwordx2 v[38:39], v[20:21], off
	global_load_dwordx2 v[64:65], v[30:31], off
	v_lshl_add_u64 v[20:21], s[10:11], 0, v[18:19]
	v_ashrrev_i32_e32 v11, 31, v10
	global_load_dwordx4 v[100:103], v[20:21], off
	v_lshlrev_b64 v[10:11], 3, v[10:11]
	v_lshl_add_u64 v[30:31], s[6:7], 0, v[10:11]
	global_load_dwordx2 v[118:119], v[30:31], off
	v_lshl_add_u64 v[10:11], s[8:9], 0, v[10:11]
	global_load_dwordx2 v[66:67], v[10:11], off
	global_load_dwordx2 v[106:107], v[20:21], off offset:16
	global_load_dwordx2 v[116:117], v[14:15], off offset:16
	v_lshl_add_u64 v[10:11], s[4:5], 0, v[18:19]
	global_load_dwordx4 v[30:33], v[10:11], off
	global_load_dwordx4 v[34:37], v[10:11], off offset:-16
	global_load_dwordx2 v[14:15], v[10:11], off offset:16
	v_add_u32_e32 v12, -2, v12
	v_mul_lo_u32 v25, v12, s35
	v_add_u32_e32 v43, v22, v25
	v_add_u32_e32 v12, v43, v49
	s_waitcnt vmcnt(22)
	v_div_scale_f64 v[56:57], s[14:15], v[0:1], v[0:1], 1.0
	s_waitcnt vmcnt(20)
	v_div_scale_f64 v[10:11], s[14:15], v[4:5], v[4:5], 1.0
	v_rcp_f64_e32 v[18:19], v[10:11]
	v_rcp_f64_e32 v[58:59], v[56:57]
	v_ashrrev_i32_e32 v13, 31, v12
	v_lshlrev_b64 v[12:13], 3, v[12:13]
	v_fma_f64 v[20:21], -v[10:11], v[18:19], 1.0
	v_fmac_f64_e32 v[18:19], v[18:19], v[20:21]
	v_fma_f64 v[20:21], -v[10:11], v[18:19], 1.0
	v_fmac_f64_e32 v[18:19], v[18:19], v[20:21]
	v_div_scale_f64 v[20:21], vcc, 1.0, v[4:5], 1.0
	v_mul_f64 v[54:55], v[20:21], v[18:19]
	v_fma_f64 v[10:11], -v[10:11], v[54:55], v[20:21]
	v_add3_u32 v53, v25, v23, v22
	s_nop 0
	v_div_fmas_f64 v[10:11], v[10:11], v[18:19], v[54:55]
	v_fma_f64 v[18:19], -v[56:57], v[58:59], 1.0
	v_fmac_f64_e32 v[58:59], v[58:59], v[18:19]
	v_fma_f64 v[18:19], -v[56:57], v[58:59], 1.0
	v_fmac_f64_e32 v[58:59], v[58:59], v[18:19]
	v_div_scale_f64 v[18:19], vcc, 1.0, v[0:1], 1.0
	v_mul_f64 v[20:21], v[18:19], v[58:59]
	v_fma_f64 v[18:19], -v[56:57], v[20:21], v[18:19]
	s_waitcnt vmcnt(18)
	scratch_store_dwordx2 off, v[60:61], off offset:480 ; 8-byte Folded Spill
	v_div_fmas_f64 v[20:21], v[18:19], v[58:59], v[20:21]
	v_add_u32_e32 v25, s35, v25
	v_add_u32_e32 v27, v22, v25
	s_lshl_b32 s14, s2, 1
	v_add_u32_e32 v80, s14, v44
	v_ashrrev_i32_e32 v81, 31, v80
	v_add_u32_e32 v114, s14, v53
	v_ashrrev_i32_e32 v115, 31, v114
	s_ashr_i32 s15, s14, 31
	v_ashrrev_i32_e32 v45, 31, v44
	s_mul_i32 s16, s2, 3
	s_ashr_i32 s17, s16, 31
	s_mov_b32 s24, 0x55555555
	s_mov_b32 s25, 0x3fc55555
	s_lshl_b32 s42, s30, 1
	s_mul_i32 s43, s30, 3
	s_sub_i32 s40, 0, s18
	s_waitcnt vmcnt(17)
	v_fma_f64 v[18:19], 2.0, v[122:123], v[60:61]
	scratch_store_dwordx2 off, v[18:19], off offset:704 ; 8-byte Folded Spill
	v_mul_f64 v[18:19], v[18:19], v[96:97]
	v_mul_f64 v[18:19], v[96:97], v[18:19]
	s_waitcnt vmcnt(16)
	scratch_store_dwordx2 off, v[62:63], off offset:64 ; 8-byte Folded Spill
	s_waitcnt vmcnt(16)
	v_fma_f64 v[54:55], 2.0, v[124:125], v[62:63]
	scratch_store_dwordx2 off, v[54:55], off offset:696 ; 8-byte Folded Spill
	v_mul_f64 v[54:55], v[54:55], v[98:99]
	v_mul_f64 v[54:55], v[98:99], v[54:55]
	;; [unrolled: 1-line block ×3, first 2 shown]
	v_mov_b64_e32 v[68:69], v[56:57]
	s_waitcnt vmcnt(13)
	v_fmac_f64_e32 v[38:39], 2.0, v[28:29]
	s_waitcnt vmcnt(12)
	v_fma_f64 v[60:61], 2.0, v[104:105], v[64:65]
	scratch_store_dwordx2 off, v[60:61], off offset:552 ; 8-byte Folded Spill
	scratch_store_dwordx2 off, v[64:65], off offset:504 ; 8-byte Folded Spill
	s_waitcnt vmcnt(13)
	v_mul_f64 v[38:39], v[38:39], v[100:101]
	v_mul_f64 v[60:61], v[60:61], v[102:103]
	;; [unrolled: 1-line block ×6, first 2 shown]
	s_waitcnt vmcnt(11)
	v_fma_f64 v[64:65], 2.0, v[118:119], v[66:67]
	scratch_store_dwordx2 off, v[66:67], off offset:528 ; 8-byte Folded Spill
	scratch_store_dwordx2 off, v[64:65], off offset:624 ; 8-byte Folded Spill
	s_waitcnt vmcnt(12)
	v_mul_f64 v[64:65], v[64:65], v[106:107]
	v_fma_f64 v[66:67], v[108:109], v[18:19], v[38:39]
	v_fma_f64 v[18:19], v[108:109], v[18:19], v[62:63]
	;; [unrolled: 1-line block ×3, first 2 shown]
	v_mul_f64 v[64:65], v[106:107], v[64:65]
	v_fmac_f64_e32 v[18:19], 0x40080000, v[54:55]
	s_waitcnt vmcnt(9)
	v_add_f64 v[36:37], v[36:37], -v[30:31]
	v_fmac_f64_e32 v[68:69], 0xbfe80000, v[66:67]
	v_fmac_f64_e32 v[56:57], v[116:117], v[64:65]
	v_fma_f64 v[54:55], v[2:3], v[60:61], v[38:39]
	v_add_f64 v[34:35], v[34:35], -v[30:31]
	v_mul_f64 v[18:19], v[18:19], v[36:37]
	v_fmac_f64_e32 v[56:57], 0x40080000, v[54:55]
	v_fmac_f64_e32 v[38:39], v[116:117], v[64:65]
	;; [unrolled: 1-line block ×3, first 2 shown]
	v_add_f64 v[32:33], v[32:33], -v[30:31]
	v_fmac_f64_e32 v[62:63], 0xbfe80000, v[38:39]
	v_fmac_f64_e32 v[18:19], v[56:57], v[32:33]
	s_waitcnt vmcnt(8)
	v_add_f64 v[14:15], v[14:15], -v[30:31]
	v_fmac_f64_e32 v[18:19], v[62:63], v[14:15]
	v_lshl_add_u64 v[14:15], s[6:7], 0, v[12:13]
	global_load_dwordx2 v[72:73], v[14:15], off
	v_add_u32_e32 v14, s2, v53
	v_ashrrev_i32_e32 v15, 31, v14
	v_lshlrev_b64 v[14:15], 3, v[14:15]
	v_lshl_add_u64 v[32:33], s[10:11], 0, v[14:15]
	global_load_dwordx2 v[74:75], v[32:33], off
	v_add_u32_e32 v32, v27, v49
	v_ashrrev_i32_e32 v33, 31, v32
	v_add3_u32 v66, v25, v23, v22
	v_lshl_add_u32 v25, s35, 1, v25
	v_lshlrev_b64 v[32:33], 3, v[32:33]
	v_add3_u32 v82, v25, v23, v22
	v_lshl_add_u64 v[34:35], s[6:7], 0, v[32:33]
	v_add_u32_e32 v36, s2, v82
	v_add_u32_e32 v50, s35, v25
	global_load_dwordx2 v[70:71], v[34:35], off
	v_add_u32_e32 v34, s2, v66
	v_ashrrev_i32_e32 v37, 31, v36
	v_add3_u32 v83, v50, v23, v22
	v_ashrrev_i32_e32 v35, 31, v34
	v_lshlrev_b64 v[54:55], 3, v[36:37]
	v_add_u32_e32 v36, s2, v83
	v_lshlrev_b64 v[34:35], 3, v[34:35]
	v_ashrrev_i32_e32 v37, 31, v36
	v_lshlrev_b64 v[56:57], 3, v[36:37]
	v_lshl_add_u64 v[36:37], s[4:5], 0, v[34:35]
	v_lshl_add_u64 v[14:15], s[4:5], 0, v[14:15]
	global_load_dwordx2 v[38:39], v[36:37], off
	v_lshl_add_u64 v[36:37], s[4:5], 0, v[54:55]
	global_load_dwordx2 v[14:15], v[14:15], off
	;; [unrolled: 2-line block ×3, first 2 shown]
	v_lshl_add_u64 v[36:37], s[4:5], 0, v[56:57]
	v_lshl_add_u64 v[32:33], s[8:9], 0, v[32:33]
	global_load_dwordx2 v[62:63], v[36:37], off
	global_load_dwordx2 v[64:65], v[12:13], off
	v_lshl_add_u64 v[12:13], s[10:11], 0, v[34:35]
	global_load_dwordx2 v[34:35], v[32:33], off
	global_load_dwordx2 v[76:77], v[12:13], off
	global_load_dwordx4 v[84:87], v[16:17], off offset:-16
	v_mul_f64 v[58:59], v[4:5], v[58:59]
	v_add_u32_e32 v47, v22, v25
	v_lshl_add_u64 v[54:55], s[10:11], 0, v[54:55]
	v_add_u32_e32 v112, s14, v66
	v_ashrrev_i32_e32 v113, 31, v112
	v_lshl_add_u64 v[68:69], v[80:81], 3, s[4:5]
	v_lshl_add_u64 v[56:57], s[10:11], 0, v[56:57]
	v_add_u32_e32 v120, s14, v82
	v_ashrrev_i32_e32 v121, 31, v120
	v_add_u32_e32 v126, s14, v83
	v_ashrrev_i32_e32 v127, 31, v126
	s_waitcnt vmcnt(7)
	v_add_f64 v[38:39], v[38:39], -v[30:31]
	s_waitcnt vmcnt(6)
	v_add_f64 v[36:37], v[14:15], -v[30:31]
	;; [unrolled: 2-line block ×4, first 2 shown]
	s_waitcnt vmcnt(3)
	v_fma_f64 v[12:13], 2.0, v[72:73], v[64:65]
	s_waitcnt vmcnt(2)
	v_fma_f64 v[14:15], 2.0, v[70:71], v[34:35]
	scratch_store_dwordx2 off, v[14:15], off offset:384 ; 8-byte Folded Spill
	s_waitcnt vmcnt(2)
	v_mul_f64 v[14:15], v[76:77], v[14:15]
	scratch_store_dwordx2 off, v[12:13], off offset:392 ; 8-byte Folded Spill
	v_mul_f64 v[12:13], v[74:75], v[12:13]
	v_mul_f64 v[14:15], v[76:77], v[14:15]
	;; [unrolled: 1-line block ×3, first 2 shown]
	s_waitcnt vmcnt(2)
	v_mul_f64 v[60:61], v[86:87], v[14:15]
	scratch_store_dwordx2 off, v[34:35], off offset:16 ; 8-byte Folded Spill
	v_fma_f64 v[34:35], v[84:85], v[12:13], v[58:59]
	v_mov_b64_e32 v[62:63], v[60:61]
	v_fmac_f64_e32 v[62:63], 0xbfe80000, v[34:35]
	v_add_u32_e32 v34, v47, v49
	v_ashrrev_i32_e32 v35, 31, v34
	v_lshlrev_b64 v[34:35], 3, v[34:35]
	scratch_store_dwordx2 off, v[64:65], off offset:32 ; 8-byte Folded Spill
	v_lshl_add_u64 v[64:65], s[6:7], 0, v[34:35]
	global_load_dwordx2 v[78:79], v[64:65], off
	v_lshl_add_u64 v[34:35], s[8:9], 0, v[34:35]
	global_load_dwordx2 v[34:35], v[34:35], off
	s_nop 0
	global_load_dwordx2 v[88:89], v[54:55], off
	s_nop 0
	scratch_store_dword off, v66, off offset:436 ; 4-byte Folded Spill
	scratch_store_dword off, v53, off offset:432 ; 4-byte Folded Spill
	v_add_u32_e32 v53, v22, v50
	v_add_u32_e32 v22, v53, v49
	v_ashrrev_i32_e32 v23, 31, v22
	v_lshlrev_b64 v[22:23], 3, v[22:23]
	v_add_u32_e32 v50, s13, v40
	s_waitcnt vmcnt(3)
	scratch_store_dwordx2 off, v[34:35], off offset:40 ; 8-byte Folded Spill
	v_fma_f64 v[34:35], 2.0, v[78:79], v[34:35]
	scratch_store_dwordx2 off, v[34:35], off offset:400 ; 8-byte Folded Spill
	s_waitcnt vmcnt(4)
	v_mul_f64 v[34:35], v[88:89], v[34:35]
	v_mul_f64 v[54:55], v[88:89], v[34:35]
	;; [unrolled: 1-line block ×3, first 2 shown]
	v_fma_f64 v[34:35], v[84:85], v[12:13], v[64:65]
	v_fma_f64 v[12:13], v[86:87], v[14:15], v[58:59]
	v_fmac_f64_e32 v[34:35], 0x40080000, v[12:13]
	v_lshl_add_u64 v[12:13], v[112:113], 3, s[4:5]
	global_load_dwordx2 v[66:67], v[12:13], off
	s_nop 0
	global_load_dwordx4 v[12:15], v[68:69], off offset:-8
	s_waitcnt vmcnt(0)
	v_add_f64 v[66:67], v[66:67], -v[14:15]
	v_mul_f64 v[34:35], v[66:67], v[34:35]
	v_lshl_add_u64 v[66:67], v[114:115], 3, s[4:5]
	global_load_dwordx2 v[66:67], v[66:67], off
	v_add_f64 v[12:13], v[12:13], -v[14:15]
	s_waitcnt vmcnt(0)
	v_add_f64 v[66:67], v[66:67], -v[14:15]
	v_fmac_f64_e32 v[34:35], v[66:67], v[62:63]
	v_lshl_add_u64 v[62:63], s[6:7], 0, v[22:23]
	global_load_dwordx2 v[90:91], v[62:63], off
	v_lshl_add_u64 v[22:23], s[8:9], 0, v[22:23]
	global_load_dwordx2 v[22:23], v[22:23], off
	s_nop 0
	global_load_dwordx2 v[94:95], v[56:57], off
	global_load_dwordx2 v[92:93], v[16:17], off offset:16
	v_mov_b64_e32 v[56:57], v[102:103]
	scratch_store_dwordx4 off, v[96:99], off offset:448 ; 16-byte Folded Spill
	scratch_store_dword off, v82, off offset:440 ; 4-byte Folded Spill
	scratch_store_dword off, v83, off offset:444 ; 4-byte Folded Spill
	scratch_store_dwordx2 off, v[122:123], off offset:600 ; 8-byte Folded Spill
	scratch_store_dwordx2 off, v[124:125], off offset:608 ; 8-byte Folded Spill
	;; [unrolled: 1-line block ×3, first 2 shown]
	v_add_u32_e32 v82, s2, v80
	v_ashrrev_i32_e32 v83, 31, v82
	s_waitcnt vmcnt(8)
	v_fma_f64 v[16:17], 2.0, v[90:91], v[22:23]
	scratch_store_dwordx2 off, v[16:17], off offset:424 ; 8-byte Folded Spill
	s_waitcnt vmcnt(8)
	v_mul_f64 v[16:17], v[94:95], v[16:17]
	v_mul_f64 v[16:17], v[94:95], v[16:17]
	scratch_store_dwordx2 off, v[22:23], off offset:56 ; 8-byte Folded Spill
	s_waitcnt vmcnt(8)
	v_fmac_f64_e32 v[60:61], v[92:93], v[16:17]
	v_fma_f64 v[22:23], v[6:7], v[54:55], v[58:59]
	v_fmac_f64_e32 v[60:61], 0x40080000, v[22:23]
	v_lshl_add_u64 v[22:23], v[120:121], 3, s[4:5]
	global_load_dwordx2 v[22:23], v[22:23], off
	v_fmac_f64_e32 v[58:59], v[92:93], v[16:17]
	v_lshl_add_u64 v[16:17], v[126:127], 3, s[4:5]
	global_load_dwordx2 v[16:17], v[16:17], off
	v_fmac_f64_e32 v[64:65], 0xbfe80000, v[58:59]
	s_waitcnt vmcnt(1)
	v_add_f64 v[22:23], v[22:23], -v[14:15]
	v_fmac_f64_e32 v[34:35], v[22:23], v[60:61]
	v_mul_f64 v[22:23], v[122:123], v[96:97]
	s_waitcnt vmcnt(0)
	v_add_f64 v[16:17], v[16:17], -v[14:15]
	v_fmac_f64_e32 v[34:35], v[16:17], v[64:65]
	v_mul_f64 v[16:17], v[28:29], v[100:101]
	v_mul_f64 v[62:63], v[96:97], v[22:23]
	;; [unrolled: 1-line block ×7, first 2 shown]
	v_fma_f64 v[54:55], v[108:109], v[62:63], v[28:29]
	v_mov_b64_e32 v[58:59], v[22:23]
	v_fmac_f64_e32 v[58:59], 0xbfe80000, v[54:55]
	v_mul_f64 v[54:55], v[104:105], v[102:103]
	v_mul_f64 v[96:97], v[102:103], v[54:55]
	;; [unrolled: 1-line block ×3, first 2 shown]
	scratch_store_dwordx4 off, v[54:57], off offset:488 ; 16-byte Folded Spill
	scratch_store_dwordx2 off, v[62:63], off offset:648 ; 8-byte Folded Spill
	v_fma_f64 v[62:63], v[108:109], v[62:63], v[60:61]
	scratch_store_dwordx4 off, v[108:111], off offset:536 ; 16-byte Folded Spill
	scratch_store_dwordx2 off, v[64:65], off offset:632 ; 8-byte Folded Spill
	v_fma_f64 v[54:55], v[110:111], v[64:65], v[28:29]
	v_fmac_f64_e32 v[62:63], 0x40080000, v[54:55]
	global_load_dwordx4 v[54:57], v[68:69], off offset:8
	v_mul_f64 v[66:67], v[62:63], v[12:13]
	v_mul_f64 v[16:17], v[4:5], v[16:17]
	scratch_store_dwordx2 off, v[118:119], off offset:584 ; 8-byte Folded Spill
	scratch_store_dwordx2 off, v[106:107], off offset:520 ; 8-byte Folded Spill
	;; [unrolled: 1-line block ×3, first 2 shown]
	s_waitcnt vmcnt(3)
	v_add_f64 v[64:65], v[56:57], -v[14:15]
	v_lshl_add_u64 v[56:57], v[44:45], 0, s[14:15]
	v_lshl_add_u64 v[56:57], v[56:57], 3, s[4:5]
	global_load_dwordx2 v[56:57], v[56:57], off offset:-16
	v_add_f64 v[54:55], v[54:55], -v[14:15]
	s_waitcnt vmcnt(0)
	v_add_f64 v[56:57], v[56:57], -v[14:15]
	v_fmac_f64_e32 v[66:67], v[58:59], v[56:57]
	v_lshl_add_u64 v[56:57], v[82:83], 3, s[4:5]
	global_load_dwordx4 v[12:15], v[56:57], off offset:-8
	s_waitcnt vmcnt(0)
	v_add_f64 v[12:13], v[12:13], -v[14:15]
	v_mul_f64 v[12:13], v[62:63], v[12:13]
	v_lshl_add_u64 v[62:63], v[44:45], 0, s[16:17]
	v_lshl_add_u64 v[62:63], v[62:63], 3, s[4:5]
	global_load_dwordx2 v[62:63], v[62:63], off offset:-16
	s_waitcnt vmcnt(0)
	v_add_f64 v[62:63], v[62:63], -v[14:15]
	v_fmac_f64_e32 v[12:13], v[58:59], v[62:63]
	v_mul_f64 v[58:59], v[118:119], v[106:107]
	v_mul_f64 v[62:63], v[106:107], v[58:59]
	v_fmac_f64_e32 v[22:23], v[116:117], v[62:63]
	v_fma_f64 v[58:59], v[2:3], v[96:97], v[28:29]
	v_fmac_f64_e32 v[22:23], 0x40080000, v[58:59]
	v_fmac_f64_e32 v[66:67], v[22:23], v[54:55]
	global_load_dwordx4 v[54:57], v[56:57], off offset:8
	v_fmac_f64_e32 v[28:29], v[116:117], v[62:63]
	v_fmac_f64_e32 v[60:61], 0xbfe80000, v[28:29]
	;; [unrolled: 1-line block ×3, first 2 shown]
	scratch_store_dwordx2 off, v[116:117], off offset:576 ; 8-byte Folded Spill
	scratch_store_dwordx2 off, v[62:63], off offset:680 ; 8-byte Folded Spill
	;; [unrolled: 1-line block ×3, first 2 shown]
	scratch_store_dwordx2 off, v[74:75], off ; 8-byte Folded Spill
	scratch_store_dwordx2 off, v[70:71], off offset:344 ; 8-byte Folded Spill
	scratch_store_dwordx2 off, v[76:77], off offset:8 ; 8-byte Folded Spill
	;; [unrolled: 1-line block ×4, first 2 shown]
	s_waitcnt vmcnt(8)
	v_add_f64 v[54:55], v[54:55], -v[14:15]
	v_fmac_f64_e32 v[12:13], v[22:23], v[54:55]
	v_add_f64 v[22:23], v[56:57], -v[14:15]
	v_fmac_f64_e32 v[12:13], v[60:61], v[22:23]
	v_mul_f64 v[22:23], v[72:73], v[74:75]
	v_mul_f64 v[56:57], v[74:75], v[22:23]
	;; [unrolled: 1-line block ×5, first 2 shown]
	v_fma_f64 v[28:29], v[84:85], v[56:57], v[16:17]
	v_mov_b64_e32 v[54:55], v[22:23]
	v_fmac_f64_e32 v[54:55], 0xbfe80000, v[28:29]
	v_mul_f64 v[28:29], v[78:79], v[88:89]
	v_mul_f64 v[60:61], v[88:89], v[28:29]
	;; [unrolled: 1-line block ×3, first 2 shown]
	scratch_store_dwordx2 off, v[56:57], off offset:728 ; 8-byte Folded Spill
	v_fma_f64 v[56:57], v[84:85], v[56:57], v[28:29]
	scratch_store_dwordx4 off, v[84:87], off offset:360 ; 16-byte Folded Spill
	scratch_store_dwordx2 off, v[58:59], off offset:712 ; 8-byte Folded Spill
	v_fma_f64 v[58:59], v[86:87], v[58:59], v[16:17]
	v_fmac_f64_e32 v[56:57], 0x40080000, v[58:59]
	v_mul_f64 v[38:39], v[56:57], v[38:39]
	v_fmac_f64_e32 v[38:39], v[54:55], v[36:37]
	v_add_u32_e32 v36, s2, v112
	v_ashrrev_i32_e32 v37, 31, v36
	scratch_store_dwordx2 off, v[36:37], off offset:656 ; 8-byte Folded Spill
	v_lshl_add_u64 v[36:37], v[36:37], 3, s[4:5]
	global_load_dwordx2 v[36:37], v[36:37], off
	s_waitcnt vmcnt(0)
	v_add_f64 v[36:37], v[36:37], -v[14:15]
	v_mul_f64 v[36:37], v[56:57], v[36:37]
	v_add_u32_e32 v56, s2, v114
	v_ashrrev_i32_e32 v57, 31, v56
	scratch_store_dwordx2 off, v[56:57], off offset:664 ; 8-byte Folded Spill
	v_lshl_add_u64 v[56:57], v[56:57], 3, s[4:5]
	global_load_dwordx2 v[56:57], v[56:57], off
	s_waitcnt vmcnt(0)
	v_add_f64 v[56:57], v[56:57], -v[14:15]
	v_fmac_f64_e32 v[36:37], v[54:55], v[56:57]
	v_mul_f64 v[54:55], v[90:91], v[94:95]
	v_mul_f64 v[56:57], v[94:95], v[54:55]
	v_fmac_f64_e32 v[22:23], v[92:93], v[56:57]
	v_fma_f64 v[54:55], v[6:7], v[60:61], v[16:17]
	v_fmac_f64_e32 v[22:23], 0x40080000, v[54:55]
	v_fmac_f64_e32 v[38:39], v[22:23], v[32:33]
	v_add_u32_e32 v32, s2, v120
	v_ashrrev_i32_e32 v33, 31, v32
	scratch_store_dwordx2 off, v[32:33], off offset:672 ; 8-byte Folded Spill
	v_lshl_add_u64 v[32:33], v[32:33], 3, s[4:5]
	global_load_dwordx2 v[32:33], v[32:33], off
	v_fmac_f64_e32 v[16:17], v[92:93], v[56:57]
	v_fmac_f64_e32 v[28:29], 0xbfe80000, v[16:17]
	;; [unrolled: 1-line block ×3, first 2 shown]
	v_div_fixup_f64 v[54:55], v[10:11], v[4:5], 1.0
	v_mul_f64 v[10:11], v[18:19], s[24:25]
	scratch_store_dwordx2 off, v[112:113], off offset:560 ; 8-byte Folded Spill
	scratch_store_dwordx2 off, v[114:115], off offset:568 ; 8-byte Folded Spill
	;; [unrolled: 1-line block ×7, first 2 shown]
	v_fma_f64 v[124:125], v[54:55], v[10:11], 0
	v_mul_f64 v[10:11], v[38:39], s[24:25]
	s_waitcnt vmcnt(7)
	v_add_f64 v[32:33], v[32:33], -v[14:15]
	v_fmac_f64_e32 v[36:37], v[22:23], v[32:33]
	v_add_u32_e32 v22, s2, v126
	v_ashrrev_i32_e32 v23, 31, v22
	scratch_store_dwordx2 off, v[22:23], off offset:688 ; 8-byte Folded Spill
	v_lshl_add_u64 v[22:23], v[22:23], 3, s[4:5]
	global_load_dwordx2 v[22:23], v[22:23], off
	s_nop 0
	scratch_store_dwordx2 off, v[92:93], off offset:416 ; 8-byte Folded Spill
	scratch_store_dwordx2 off, v[56:57], off offset:736 ; 8-byte Folded Spill
	v_div_fixup_f64 v[56:57], v[20:21], v[0:1], 1.0
	v_fmac_f64_e32 v[124:125], v[56:57], v[10:11]
	v_mul_f64 v[10:11], v[66:67], s[24:25]
	v_fma_f64 v[72:73], v[54:55], v[10:11], 0
	v_mul_f64 v[10:11], v[34:35], s[24:25]
	v_fmac_f64_e32 v[72:73], v[56:57], v[10:11]
	v_mul_f64 v[10:11], v[12:13], s[24:25]
	v_fma_f64 v[126:127], v[54:55], v[10:11], 0
	v_mul_f64 v[74:75], v[56:57], v[54:55]
	s_waitcnt vmcnt(2)
	v_add_f64 v[14:15], v[22:23], -v[14:15]
	v_fmac_f64_e32 v[36:37], v[28:29], v[14:15]
	v_mul_f64 v[10:11], v[36:37], s[24:25]
	s_load_dwordx4 s[24:27], s[0:1], 0x68
	v_fmac_f64_e32 v[126:127], v[56:57], v[10:11]
	s_waitcnt lgkmcnt(0)
	v_lshl_add_u64 v[8:9], s[24:25], 0, v[8:9]
	global_load_dwordx2 v[8:9], v[8:9], off
	s_waitcnt vmcnt(0)
	scratch_store_dwordx2 off, v[8:9], off offset:336 ; 8-byte Folded Spill
	s_load_dword s29, s[0:1], 0x30
	s_load_dwordx2 s[24:25], s[0:1], 0x80
	s_waitcnt lgkmcnt(0)
	s_add_i32 s41, s29, s31
	s_sub_i32 s41, s41, s42
	s_lshl_b32 s42, s31, 1
	s_add_i32 s42, s29, s42
	s_mul_i32 s31, s31, 3
	s_sub_i32 s42, s42, s43
	s_add_i32 s31, s29, s31
	s_lshl_b32 s43, s30, 2
	s_add_i32 s39, s29, -7
	s_sub_i32 s31, s31, s43
	s_add_i32 s41, s41, -6
	s_add_i32 s42, s42, -5
	;; [unrolled: 1-line block ×3, first 2 shown]
	s_sub_i32 s30, s39, s30
	s_mul_i32 s41, s41, s38
	s_mul_i32 s42, s42, s38
	;; [unrolled: 1-line block ×4, first 2 shown]
	s_add_i32 s41, s37, s41
	s_add_i32 s42, s37, s42
	;; [unrolled: 1-line block ×4, first 2 shown]
	v_add_u32_e32 v15, s41, v48
	v_add_u32_e32 v14, s42, v48
	;; [unrolled: 1-line block ×4, first 2 shown]
	v_sub_u32_e32 v28, s29, v41
	s_add_i32 s36, s29, -8
	s_mov_b32 s30, s39
	v_mad_u64_u32 v[122:123], s[42:43], v15, s35, v[50:51]
	v_mad_u64_u32 v[48:49], s[42:43], v14, s35, v[50:51]
	;; [unrolled: 1-line block ×4, first 2 shown]
	v_add_u32_e32 v12, 0x17a, v28
.LBB4_2:                                ; =>This Loop Header: Depth=1
                                        ;     Child Loop BB4_3 Depth 2
	v_mov_b32_e32 v34, v12
	v_add_u32_e32 v13, s33, v68
	v_add_u32_e32 v29, s33, v76
	;; [unrolled: 1-line block ×4, first 2 shown]
	s_mov_b32 s31, s36
	v_mov_b64_e32 v[8:9], 0
	v_mov_b64_e32 v[16:17], 0
	;; [unrolled: 1-line block ×6, first 2 shown]
.LBB4_3:                                ;   Parent Loop BB4_2 Depth=1
                                        ; =>  This Inner Loop Header: Depth=2
	v_add_u32_e32 v20, s40, v13
	v_add_u32_e32 v40, s40, v59
	v_add_u32_e32 v62, s40, v49
	v_ashrrev_i32_e32 v21, 31, v20
	v_ashrrev_i32_e32 v41, 31, v40
	v_ashrrev_i32_e32 v63, 31, v62
	v_lshlrev_b64 v[22:23], 3, v[20:21]
	v_lshl_add_u64 v[40:41], v[40:41], 3, s[10:11]
	v_lshl_add_u64 v[62:63], v[62:63], 3, s[10:11]
	;; [unrolled: 1-line block ×4, first 2 shown]
	global_load_dwordx2 v[40:41], v[40:41], off
	v_add_u32_e32 v66, s40, v29
	global_load_dwordx2 v[62:63], v[62:63], off
	v_ashrrev_i32_e32 v67, 31, v66
	global_load_dwordx2 v[20:21], v[20:21], off
	v_lshl_add_u64 v[66:67], v[66:67], 3, s[10:11]
	global_load_dwordx2 v[22:23], v[22:23], off
	v_ashrrev_i32_e32 v35, 31, v34
	global_load_dwordx2 v[66:67], v[66:67], off
	v_lshl_add_u64 v[18:19], v[34:35], 3, s[20:21]
	global_load_dwordx2 v[18:19], v[18:19], off
	s_add_i32 s31, s31, 1
	v_add_u32_e32 v59, s34, v59
	v_add_u32_e32 v49, s34, v49
	v_add_u32_e32 v29, s34, v29
	v_add_u32_e32 v13, s34, v13
	v_subrev_u32_e32 v34, 48, v34
	s_cmp_ge_i32 s31, s29
	s_waitcnt vmcnt(4)
	v_mul_f64 v[64:65], v[4:5], v[62:63]
	v_mul_f64 v[64:65], v[62:63], v[64:65]
	;; [unrolled: 1-line block ×3, first 2 shown]
	s_waitcnt vmcnt(2)
	v_fma_f64 v[38:39], 2.0, v[20:21], v[22:23]
	v_mul_f64 v[60:61], v[38:39], v[40:41]
	v_mul_f64 v[60:61], v[0:1], v[60:61]
	s_waitcnt vmcnt(1)
	v_fma_f64 v[78:79], v[66:67], v[66:67], v[64:65]
	v_mul_f64 v[60:61], v[40:41], v[60:61]
	v_mul_f64 v[78:79], v[20:21], v[78:79]
	v_fmac_f64_e32 v[78:79], v[0:1], v[60:61]
	s_waitcnt vmcnt(0)
	v_fmac_f64_e32 v[36:37], v[18:19], v[78:79]
	v_mul_f64 v[78:79], v[0:1], v[40:41]
	v_mul_f64 v[70:71], v[66:67], v[66:67]
	v_mul_f64 v[60:61], v[38:39], v[62:63]
	v_mul_f64 v[78:79], v[40:41], v[78:79]
	v_mul_f64 v[60:61], v[4:5], v[60:61]
	v_fmac_f64_e32 v[70:71], v[0:1], v[78:79]
	v_mul_f64 v[60:61], v[62:63], v[60:61]
	v_mul_f64 v[70:71], v[20:21], v[70:71]
	v_fmac_f64_e32 v[64:65], v[0:1], v[78:79]
	v_fmac_f64_e32 v[70:71], v[4:5], v[60:61]
	v_mul_f64 v[38:39], v[38:39], v[66:67]
	v_mul_f64 v[60:61], v[20:21], v[64:65]
	v_fmac_f64_e32 v[60:61], v[66:67], v[38:39]
	v_add_f64 v[20:21], v[20:21], v[22:23]
	v_fmac_f64_e32 v[16:17], v[18:19], v[70:71]
	v_fmac_f64_e32 v[8:9], v[18:19], v[60:61]
	v_mul_f64 v[18:19], v[18:19], v[20:21]
	v_mul_f64 v[20:21], v[40:41], v[18:19]
	;; [unrolled: 1-line block ×3, first 2 shown]
	v_fmac_f64_e32 v[30:31], v[62:63], v[20:21]
	v_fmac_f64_e32 v[32:33], v[20:21], v[66:67]
	;; [unrolled: 1-line block ×3, first 2 shown]
	s_cbranch_scc0 .LBB4_3
; %bb.4:                                ;   in Loop: Header=BB4_2 Depth=1
	s_mul_i32 s31, s30, s34
	v_add_u32_e32 v20, s31, v42
	v_ashrrev_i32_e32 v21, 31, v20
	v_lshl_add_u64 v[22:23], v[20:21], 3, s[4:5]
	v_add_u32_e32 v20, s2, v20
	v_ashrrev_i32_e32 v21, 31, v20
	v_lshl_add_u64 v[34:35], v[20:21], 3, s[4:5]
	v_add_u32_e32 v20, s2, v20
	global_load_dwordx2 v[22:23], v[22:23], off
	v_ashrrev_i32_e32 v21, 31, v20
	global_load_dwordx2 v[34:35], v[34:35], off
	v_lshl_add_u64 v[20:21], v[20:21], 3, s[4:5]
	global_load_dwordx2 v[20:21], v[20:21], off
	v_mul_f64 v[16:17], v[74:75], v[16:17]
	v_mul_f64 v[18:19], v[74:75], v[36:37]
	;; [unrolled: 1-line block ×4, first 2 shown]
	s_add_i32 s31, s30, 1
	v_add_u32_e32 v12, -6, v12
	s_cmp_ge_i32 s30, s29
	s_waitcnt vmcnt(1)
	v_mul_f64 v[16:17], v[16:17], v[34:35]
	v_mul_f64 v[36:37], v[30:31], v[34:35]
	v_fmac_f64_e32 v[16:17], v[30:31], v[22:23]
	v_fmac_f64_e32 v[36:37], v[18:19], v[22:23]
	v_mul_f64 v[18:19], v[54:55], v[32:33]
	s_waitcnt vmcnt(0)
	v_fmac_f64_e32 v[16:17], v[10:11], v[20:21]
	v_mul_f64 v[10:11], v[10:11], v[34:35]
	v_fmac_f64_e32 v[10:11], v[18:19], v[22:23]
	v_fmac_f64_e32 v[36:37], v[18:19], v[20:21]
	;; [unrolled: 1-line block ×3, first 2 shown]
	v_add_f64 v[124:125], v[124:125], v[36:37]
	v_add_f64 v[72:73], v[72:73], v[16:17]
	;; [unrolled: 1-line block ×3, first 2 shown]
	s_cbranch_scc1 .LBB4_6
; %bb.5:                                ;   in Loop: Header=BB4_2 Depth=1
	s_mov_b32 s30, s31
	s_branch .LBB4_2
.LBB4_6:
	scratch_store_dwordx2 off, v[48:49], off offset:744 ; 8-byte Folded Spill
	scratch_store_dwordx2 off, v[56:57], off offset:472 ; 8-byte Folded Spill
	scratch_load_dword v8, off, off offset:72 ; 4-byte Folded Reload
	v_ashrrev_i32_e32 v29, 31, v28
	s_mul_i32 s20, s29, s34
	v_add_u32_e32 v23, s28, v52
	v_add_u32_e32 v22, s28, v46
	;; [unrolled: 1-line block ×6, first 2 shown]
	v_mov_b64_e32 v[66:67], 0
	v_mov_b64_e32 v[64:65], 0
	;; [unrolled: 1-line block ×9, first 2 shown]
	s_waitcnt vmcnt(0)
	v_add_u32_e32 v20, s28, v8
	scratch_load_dword v8, off, off offset:80 ; 4-byte Folded Reload
	v_add_u32_e32 v32, v43, v20
	v_add_u32_e32 v36, v47, v20
	s_waitcnt vmcnt(0)
	v_add_u32_e32 v21, s28, v8
	v_lshl_add_u64 v[8:9], v[28:29], 3, s[22:23]
	global_load_dwordx2 v[8:9], v[8:9], off
	v_add_u32_e32 v29, v53, v22
	v_add_u32_e32 v30, v53, v21
	;; [unrolled: 1-line block ×6, first 2 shown]
	s_mov_b32 s22, s36
	s_waitcnt vmcnt(0)
	scratch_store_dwordx2 off, v[8:9], off offset:752 ; 8-byte Folded Spill
	v_add_u32_e32 v8, s20, v42
	v_ashrrev_i32_e32 v9, 31, v8
	v_lshlrev_b64 v[10:11], 3, v[8:9]
	v_lshl_add_u64 v[12:13], s[6:7], 0, v[10:11]
	v_lshl_add_u64 v[10:11], s[8:9], 0, v[10:11]
	global_load_dwordx2 v[10:11], v[10:11], off
	s_add_i32 s20, s14, s20
	global_load_dwordx2 v[12:13], v[12:13], off
	v_add_u32_e32 v8, s34, v8
	v_ashrrev_i32_e32 v9, 31, v8
	s_waitcnt vmcnt(1)
	scratch_store_dwordx2 off, v[10:11], off offset:768 ; 8-byte Folded Spill
	v_add_u32_e32 v10, s20, v26
	v_ashrrev_i32_e32 v11, 31, v10
	s_waitcnt vmcnt(1)
	scratch_store_dwordx2 off, v[12:13], off offset:760 ; 8-byte Folded Spill
	v_lshl_add_u64 v[12:13], v[10:11], 3, s[10:11]
	v_add_u32_e32 v10, s2, v10
	v_ashrrev_i32_e32 v11, 31, v10
	v_lshl_add_u64 v[16:17], v[10:11], 3, s[10:11]
	v_add_u32_e32 v10, s2, v10
	v_ashrrev_i32_e32 v11, 31, v10
	v_lshl_add_u64 v[10:11], v[10:11], 3, s[10:11]
	global_load_dwordx2 v[12:13], v[12:13], off
	s_mul_i32 s20, s34, s39
	global_load_dwordx2 v[10:11], v[10:11], off
	s_waitcnt vmcnt(1)
	scratch_store_dwordx2 off, v[12:13], off offset:792 ; 8-byte Folded Spill
	global_load_dwordx2 v[12:13], v[16:17], off
	s_waitcnt vmcnt(2)
	scratch_store_dwordx2 off, v[10:11], off offset:776 ; 8-byte Folded Spill
	v_lshl_add_u64 v[10:11], v[8:9], 3, s[4:5]
	v_add_u32_e32 v8, s2, v8
	v_ashrrev_i32_e32 v9, 31, v8
	v_lshl_add_u64 v[16:17], v[8:9], 3, s[4:5]
	v_add_u32_e32 v8, s2, v8
	v_ashrrev_i32_e32 v9, 31, v8
	v_lshl_add_u64 v[8:9], v[8:9], 3, s[4:5]
	global_load_dwordx2 v[10:11], v[10:11], off
	s_nop 0
	global_load_dwordx2 v[8:9], v[8:9], off
	s_waitcnt vmcnt(3)
	scratch_store_dwordx2 off, v[12:13], off offset:784 ; 8-byte Folded Spill
	v_add_u32_e32 v12, v53, v23
	v_add_u32_e32 v18, s14, v12
	v_ashrrev_i32_e32 v19, 31, v18
	v_lshl_add_u64 v[18:19], v[18:19], 3, s[4:5]
	v_add_u32_e32 v13, v53, v20
	v_add_u32_e32 v23, v27, v23
	;; [unrolled: 1-line block ×3, first 2 shown]
	v_ashrrev_i32_e32 v27, 31, v26
	v_mov_b64_e32 v[52:53], 0
	s_waitcnt vmcnt(2)
	scratch_store_dwordx2 off, v[10:11], off offset:808 ; 8-byte Folded Spill
	global_load_dwordx2 v[10:11], v[16:17], off
	s_waitcnt vmcnt(3)
	scratch_store_dwordx2 off, v[8:9], off offset:800 ; 8-byte Folded Spill
	global_load_dwordx2 v[8:9], v[18:19], off
	v_add_u32_e32 v18, s14, v31
	v_ashrrev_i32_e32 v19, 31, v18
	v_lshl_add_u64 v[18:19], v[18:19], 3, s[4:5]
	s_waitcnt vmcnt(0)
	scratch_store_dwordx2 off, v[8:9], off offset:72 ; 8-byte Folded Spill
	v_add_u32_e32 v8, s14, v13
	v_ashrrev_i32_e32 v9, 31, v8
	v_lshl_add_u64 v[8:9], v[8:9], 3, s[4:5]
	global_load_dwordx2 v[8:9], v[8:9], off
	v_add_u32_e32 v16, s14, v30
	scratch_store_dwordx2 off, v[10:11], off offset:816 ; 8-byte Folded Spill
	v_add_u32_e32 v10, s14, v29
	v_ashrrev_i32_e32 v11, 31, v10
	v_lshl_add_u64 v[10:11], v[10:11], 3, s[4:5]
	v_ashrrev_i32_e32 v17, 31, v16
	v_lshl_add_u64 v[16:17], v[16:17], 3, s[4:5]
	s_waitcnt vmcnt(1)
	scratch_store_dwordx2 off, v[8:9], off offset:88 ; 8-byte Folded Spill
	global_load_dwordx2 v[8:9], v[10:11], off
	v_add_u32_e32 v10, s14, v33
	v_ashrrev_i32_e32 v11, 31, v10
	v_lshl_add_u64 v[10:11], v[10:11], 3, s[4:5]
	s_waitcnt vmcnt(0)
	scratch_store_dwordx2 off, v[8:9], off offset:80 ; 8-byte Folded Spill
	global_load_dwordx2 v[56:57], v[16:17], off
	s_nop 0
	global_load_dwordx2 v[8:9], v[18:19], off
	v_add_u32_e32 v16, s14, v34
	v_ashrrev_i32_e32 v17, 31, v16
	v_lshl_add_u64 v[16:17], v[16:17], 3, s[4:5]
	v_add_u32_e32 v18, s14, v35
	v_ashrrev_i32_e32 v19, 31, v18
	v_lshl_add_u64 v[18:19], v[18:19], 3, s[4:5]
	s_waitcnt vmcnt(0)
	scratch_store_dwordx2 off, v[8:9], off offset:104 ; 8-byte Folded Spill
	v_add_u32_e32 v8, s14, v32
	v_ashrrev_i32_e32 v9, 31, v8
	v_lshl_add_u64 v[8:9], v[8:9], 3, s[4:5]
	global_load_dwordx2 v[8:9], v[8:9], off
	s_waitcnt vmcnt(0)
	scratch_store_dwordx2 off, v[8:9], off offset:120 ; 8-byte Folded Spill
	global_load_dwordx2 v[8:9], v[10:11], off
	v_add_u32_e32 v10, s14, v37
	v_ashrrev_i32_e32 v11, 31, v10
	v_lshl_add_u64 v[10:11], v[10:11], 3, s[4:5]
	s_waitcnt vmcnt(0)
	scratch_store_dwordx2 off, v[8:9], off offset:96 ; 8-byte Folded Spill
	global_load_dwordx2 v[8:9], v[16:17], off
	v_add_u32_e32 v16, s14, v38
	v_ashrrev_i32_e32 v17, 31, v16
	v_lshl_add_u64 v[16:17], v[16:17], 3, s[4:5]
	s_waitcnt vmcnt(0)
	scratch_store_dwordx2 off, v[8:9], off offset:112 ; 8-byte Folded Spill
	global_load_dwordx2 v[8:9], v[18:19], off
	v_add_u32_e32 v18, s14, v23
	v_ashrrev_i32_e32 v19, 31, v18
	v_lshl_add_u64 v[18:19], v[18:19], 3, s[4:5]
	s_waitcnt vmcnt(0)
	scratch_store_dwordx2 off, v[8:9], off offset:136 ; 8-byte Folded Spill
	v_add_u32_e32 v8, s14, v36
	v_ashrrev_i32_e32 v9, 31, v8
	v_lshl_add_u64 v[8:9], v[8:9], 3, s[4:5]
	global_load_dwordx2 v[8:9], v[8:9], off
	s_waitcnt vmcnt(0)
	scratch_store_dwordx2 off, v[8:9], off offset:160 ; 8-byte Folded Spill
	global_load_dwordx2 v[8:9], v[10:11], off
	v_add_u32_e32 v10, s14, v22
	v_ashrrev_i32_e32 v11, 31, v10
	v_lshl_add_u64 v[10:11], v[10:11], 3, s[4:5]
	s_waitcnt vmcnt(0)
	scratch_store_dwordx2 off, v[8:9], off offset:128 ; 8-byte Folded Spill
	global_load_dwordx2 v[8:9], v[16:17], off
	v_add_u32_e32 v16, s14, v21
	v_ashrrev_i32_e32 v17, 31, v16
	v_lshl_add_u64 v[16:17], v[16:17], 3, s[4:5]
	s_waitcnt vmcnt(0)
	scratch_store_dwordx2 off, v[8:9], off offset:144 ; 8-byte Folded Spill
	global_load_dwordx2 v[8:9], v[18:19], off
	;; [unrolled: 24-line block ×5, first 2 shown]
	v_add_u32_e32 v18, s2, v23
	v_ashrrev_i32_e32 v19, 31, v18
	v_lshl_add_u64 v[18:19], v[18:19], 3, s[4:5]
	s_waitcnt vmcnt(0)
	scratch_store_dwordx2 off, v[8:9], off offset:248 ; 8-byte Folded Spill
	v_add_u32_e32 v8, s2, v36
	v_ashrrev_i32_e32 v9, 31, v8
	v_lshl_add_u64 v[8:9], v[8:9], 3, s[4:5]
	global_load_dwordx2 v[8:9], v[8:9], off
	s_waitcnt vmcnt(0)
	scratch_store_dwordx2 off, v[8:9], off offset:272 ; 8-byte Folded Spill
	global_load_dwordx2 v[8:9], v[10:11], off
	v_add_u32_e32 v10, s2, v22
	v_ashrrev_i32_e32 v11, 31, v10
	v_lshl_add_u64 v[10:11], v[10:11], 3, s[4:5]
	s_waitcnt vmcnt(0)
	scratch_store_dwordx2 off, v[8:9], off offset:264 ; 8-byte Folded Spill
	global_load_dwordx2 v[8:9], v[16:17], off
	v_add_u32_e32 v16, s2, v21
	v_ashrrev_i32_e32 v17, 31, v16
	v_lshl_add_u64 v[16:17], v[16:17], 3, s[4:5]
	global_load_dwordx2 v[24:25], v[16:17], off
	s_waitcnt vmcnt(1)
	scratch_store_dwordx2 off, v[8:9], off offset:288 ; 8-byte Folded Spill
	global_load_dwordx2 v[8:9], v[18:19], off
	s_waitcnt vmcnt(0)
	scratch_store_dwordx2 off, v[8:9], off offset:280 ; 8-byte Folded Spill
	v_add_u32_e32 v8, s2, v20
	v_ashrrev_i32_e32 v9, 31, v8
	v_lshl_add_u64 v[8:9], v[8:9], 3, s[4:5]
	global_load_dwordx2 v[8:9], v[8:9], off
	v_add_u32_e32 v20, 42, v28
	v_mov_b32_e32 v16, v20
	s_waitcnt vmcnt(0)
	scratch_store_dwordx2 off, v[8:9], off offset:304 ; 8-byte Folded Spill
	global_load_dwordx2 v[8:9], v[10:11], off
	v_mov_b64_e32 v[10:11], 0
	s_waitcnt vmcnt(0)
	scratch_store_dwordx2 off, v[8:9], off offset:296 ; 8-byte Folded Spill
	v_mov_b64_e32 v[8:9], 0
.LBB4_7:                                ; =>This Inner Loop Header: Depth=1
	s_ashr_i32 s21, s20, 31
	v_lshl_add_u64 v[22:23], s[20:21], 0, v[26:27]
	v_ashrrev_i32_e32 v17, 31, v16
	v_lshl_add_u64 v[28:29], v[22:23], 0, s[2:3]
	v_lshl_add_u64 v[18:19], v[16:17], 3, s[24:25]
	;; [unrolled: 1-line block ×3, first 2 shown]
	global_load_dwordx2 v[18:19], v[18:19], off
	s_add_i32 s22, s22, 1
	global_load_dwordx4 v[28:31], v[40:41], off offset:-16
	s_add_i32 s20, s20, s34
	v_add_u32_e32 v16, -6, v16
	s_cmp_ge_i32 s22, s29
	s_waitcnt vmcnt(0)
	v_fma_f64 v[8:9], -v[18:19], v[28:29], v[8:9]
	v_lshl_add_u64 v[28:29], v[22:23], 0, s[14:15]
	v_lshl_add_u64 v[42:43], v[28:29], 3, s[4:5]
	global_load_dwordx4 v[32:35], v[42:43], off offset:-16
	v_fma_f64 v[52:53], -v[18:19], v[30:31], v[52:53]
	global_load_dwordx4 v[28:31], v[40:41], off offset:8
	v_lshl_add_u64 v[22:23], v[22:23], 0, s[16:17]
	v_lshl_add_u64 v[22:23], v[22:23], 3, s[4:5]
	global_load_dwordx4 v[36:39], v[22:23], off offset:-16
	s_waitcnt vmcnt(2)
	v_fma_f64 v[10:11], -v[18:19], v[32:33], v[10:11]
	v_fma_f64 v[100:101], -v[18:19], v[34:35], v[100:101]
	s_waitcnt vmcnt(1)
	v_fma_f64 v[118:119], -v[18:19], v[30:31], v[118:119]
	global_load_dwordx4 v[30:33], v[42:43], off offset:8
	v_fma_f64 v[70:71], -v[18:19], v[28:29], v[70:71]
	s_waitcnt vmcnt(0)
	v_fma_f64 v[86:87], -v[18:19], v[32:33], v[86:87]
	global_load_dwordx4 v[32:35], v[22:23], off offset:8
	v_fma_f64 v[62:63], -v[18:19], v[36:37], v[62:63]
	v_fma_f64 v[96:97], -v[18:19], v[38:39], v[96:97]
	;; [unrolled: 1-line block ×3, first 2 shown]
	s_waitcnt vmcnt(0)
	v_fma_f64 v[66:67], -v[18:19], v[34:35], v[66:67]
	v_fma_f64 v[64:65], -v[18:19], v[32:33], v[64:65]
	s_cbranch_scc0 .LBB4_7
; %bb.8:
	v_lshl_add_u64 v[16:17], v[80:81], 3, s[10:11]
	global_load_dwordx4 v[26:29], v[16:17], off offset:8
	v_lshl_add_u64 v[18:19], v[82:83], 3, s[10:11]
	scratch_store_dwordx2 off, v[54:55], off offset:464 ; 8-byte Folded Spill
	scratch_store_dwordx2 off, v[80:81], off offset:320 ; 8-byte Folded Spill
	scratch_store_dwordx2 off, v[82:83], off offset:328 ; 8-byte Folded Spill
	s_lshl_b32 s14, s2, 2
	s_ashr_i32 s15, s14, 31
	v_lshl_add_u64 v[22:23], v[44:45], 0, s[14:15]
	v_lshl_add_u64 v[22:23], v[22:23], 3, s[10:11]
	v_add_u32_e32 v12, -2, v58
	v_mul_lo_u32 v12, v12, s35
	v_add_u32_e32 v13, v50, v12
	s_mul_i32 s2, s19, 3
	s_lshl_b32 s3, s18, 2
	v_add_u32_e32 v15, -2, v15
	v_mul_lo_u32 v15, v15, s35
	v_add_u32_e32 v14, -2, v14
	v_mul_lo_u32 v14, v14, s35
	v_subrev_u32_e32 v105, s18, v13
	v_mov_b64_e32 v[112:113], 0
	v_mov_b32_e32 v78, v20
	v_mov_b64_e32 v[114:115], 0
	v_mov_b64_e32 v[110:111], 0
	;; [unrolled: 1-line block ×10, first 2 shown]
	s_waitcnt vmcnt(3)
	scratch_store_dwordx4 off, v[26:29], off offset:824 ; 16-byte Folded Spill
	global_load_dwordx4 v[40:43], v[16:17], off offset:-16
	s_nop 0
	global_load_dwordx4 v[26:29], v[18:19], off offset:8
	s_waitcnt vmcnt(0)
	scratch_store_dwordx4 off, v[26:29], off offset:856 ; 16-byte Folded Spill
	global_load_dwordx4 v[44:47], v[18:19], off offset:-16
	s_nop 0
	global_load_dwordx4 v[16:19], v[22:23], off offset:8
	global_load_dwordx4 v[36:39], v[22:23], off offset:-16
	s_waitcnt vmcnt(1)
	scratch_store_dwordx4 off, v[16:19], off offset:840 ; 16-byte Folded Spill
	s_nop 1
	v_add_u32_e32 v16, s2, v13
	v_subrev_u32_e32 v16, s3, v16
	v_add_u32_e32 v90, 3, v16
	v_add_u32_e32 v16, v50, v15
	;; [unrolled: 1-line block ×3, first 2 shown]
	v_subrev_u32_e32 v17, s3, v17
	v_add_u32_e32 v69, 3, v17
	v_add_u32_e32 v17, v50, v14
	;; [unrolled: 1-line block ×3, first 2 shown]
	v_subrev_u32_e32 v18, s3, v18
	s_lshl_b32 s2, s19, 2
	v_add_u32_e32 v77, 3, v18
	v_add_u32_e32 v18, s2, v13
	s_mul_i32 s3, s18, 5
	v_subrev_u32_e32 v18, s3, v18
	v_add_u32_e32 v123, 4, v18
	v_add_u32_e32 v18, s2, v16
	v_subrev_u32_e32 v18, s3, v18
	v_add_u32_e32 v88, 4, v18
	v_add_u32_e32 v18, s2, v17
	s_add_i32 s2, s13, s12
	v_subrev_u32_e32 v18, s3, v18
	s_add_i32 s2, s2, s19
	v_add_u32_e32 v89, 4, v18
	v_add_u32_e32 v18, s2, v51
	;; [unrolled: 1-line block ×3, first 2 shown]
	s_lshl_b32 s2, s18, 1
	v_subrev_u32_e32 v12, s2, v12
	v_add_u32_e32 v92, 1, v12
	v_add_u32_e32 v12, v18, v15
	v_subrev_u32_e32 v12, s2, v12
	v_add_u32_e32 v93, 1, v12
	v_add_u32_e32 v12, v18, v14
	v_subrev_u32_e32 v12, s2, v12
	v_add_u32_e32 v104, 1, v12
	v_subrev_u32_e32 v80, s18, v16
	v_subrev_u32_e32 v81, s18, v17
	v_mov_b32_e32 v14, v81
	v_mov_b32_e32 v15, v80
	;; [unrolled: 1-line block ×12, first 2 shown]
	s_mov_b32 s2, s36
	v_mov_b64_e32 v[50:51], 0
.LBB4_9:                                ; =>This Inner Loop Header: Depth=1
	v_add_u32_e32 v12, s33, v18
	v_ashrrev_i32_e32 v79, 31, v78
	v_ashrrev_i32_e32 v13, 31, v12
	v_lshl_add_u64 v[16:17], v[78:79], 3, s[24:25]
	v_lshl_add_u64 v[12:13], v[12:13], 3, s[4:5]
	global_load_dwordx2 v[16:17], v[16:17], off
	s_add_i32 s2, s2, 1
	global_load_dwordx2 v[12:13], v[12:13], off
	v_add_u32_e32 v18, s34, v18
	v_add_u32_e32 v78, -6, v78
	s_cmp_ge_i32 s2, s29
	s_waitcnt vmcnt(0)
	v_fma_f64 v[98:99], -v[16:17], v[12:13], v[98:99]
	v_add_u32_e32 v12, s33, v15
	v_ashrrev_i32_e32 v13, 31, v12
	v_lshl_add_u64 v[12:13], v[12:13], 3, s[4:5]
	global_load_dwordx2 v[12:13], v[12:13], off
	v_add_u32_e32 v15, s34, v15
	s_waitcnt vmcnt(0)
	v_fma_f64 v[94:95], -v[16:17], v[12:13], v[94:95]
	v_add_u32_e32 v12, s33, v14
	v_ashrrev_i32_e32 v13, 31, v12
	v_lshl_add_u64 v[12:13], v[12:13], 3, s[4:5]
	global_load_dwordx2 v[12:13], v[12:13], off
	v_add_u32_e32 v14, s34, v14
	s_waitcnt vmcnt(0)
	v_fma_f64 v[110:111], -v[16:17], v[12:13], v[110:111]
	v_add_u32_e32 v12, s33, v22
	v_ashrrev_i32_e32 v13, 31, v12
	v_lshl_add_u64 v[12:13], v[12:13], 3, s[4:5]
	global_load_dwordx2 v[12:13], v[12:13], off
	v_add_u32_e32 v22, s34, v22
	s_waitcnt vmcnt(0)
	v_fma_f64 v[82:83], -v[16:17], v[12:13], v[82:83]
	v_add_u32_e32 v12, s33, v21
	v_ashrrev_i32_e32 v13, 31, v12
	v_lshl_add_u64 v[12:13], v[12:13], 3, s[4:5]
	global_load_dwordx2 v[12:13], v[12:13], off
	v_add_u32_e32 v21, s34, v21
	s_waitcnt vmcnt(0)
	v_fma_f64 v[108:109], -v[16:17], v[12:13], v[108:109]
	v_add_u32_e32 v12, s33, v19
	v_ashrrev_i32_e32 v13, 31, v12
	v_lshl_add_u64 v[12:13], v[12:13], 3, s[4:5]
	global_load_dwordx2 v[12:13], v[12:13], off
	v_add_u32_e32 v19, s34, v19
	s_waitcnt vmcnt(0)
	v_fma_f64 v[50:51], -v[16:17], v[12:13], v[50:51]
	v_add_u32_e32 v12, s33, v59
	v_ashrrev_i32_e32 v13, 31, v12
	v_lshl_add_u64 v[12:13], v[12:13], 3, s[4:5]
	global_load_dwordx2 v[12:13], v[12:13], off
	v_add_u32_e32 v59, s34, v59
	s_waitcnt vmcnt(0)
	v_fma_f64 v[106:107], -v[16:17], v[12:13], v[106:107]
	v_add_u32_e32 v12, s33, v58
	v_ashrrev_i32_e32 v13, 31, v12
	v_lshl_add_u64 v[12:13], v[12:13], 3, s[4:5]
	global_load_dwordx2 v[12:13], v[12:13], off
	v_add_u32_e32 v58, s34, v58
	s_waitcnt vmcnt(0)
	v_fma_f64 v[102:103], -v[16:17], v[12:13], v[102:103]
	v_add_u32_e32 v12, s33, v23
	v_ashrrev_i32_e32 v13, 31, v12
	v_lshl_add_u64 v[12:13], v[12:13], 3, s[4:5]
	global_load_dwordx2 v[12:13], v[12:13], off
	v_add_u32_e32 v23, s34, v23
	s_waitcnt vmcnt(0)
	v_fma_f64 v[112:113], -v[16:17], v[12:13], v[112:113]
	v_add_u32_e32 v12, s33, v49
	v_ashrrev_i32_e32 v13, 31, v12
	v_lshl_add_u64 v[12:13], v[12:13], 3, s[4:5]
	global_load_dwordx2 v[12:13], v[12:13], off
	v_add_u32_e32 v49, s34, v49
	s_waitcnt vmcnt(0)
	v_fma_f64 v[84:85], -v[16:17], v[12:13], v[84:85]
	v_add_u32_e32 v12, s33, v61
	v_ashrrev_i32_e32 v13, 31, v12
	v_lshl_add_u64 v[12:13], v[12:13], 3, s[4:5]
	global_load_dwordx2 v[12:13], v[12:13], off
	v_add_u32_e32 v61, s34, v61
	s_waitcnt vmcnt(0)
	v_fma_f64 v[116:117], -v[16:17], v[12:13], v[116:117]
	v_add_u32_e32 v12, s33, v60
	v_ashrrev_i32_e32 v13, 31, v12
	v_lshl_add_u64 v[12:13], v[12:13], 3, s[4:5]
	global_load_dwordx2 v[12:13], v[12:13], off
	v_add_u32_e32 v60, s34, v60
	s_waitcnt vmcnt(0)
	v_fma_f64 v[114:115], -v[16:17], v[12:13], v[114:115]
	s_cbranch_scc0 .LBB4_9
; %bb.10:
	scratch_load_dwordx2 v[12:13], off, off offset:88 ; 8-byte Folded Reload
	scratch_load_dwordx2 v[14:15], off, off offset:72 ; 8-byte Folded Reload
	s_mov_b32 s2, 0x55555555
	s_mov_b32 s3, 0x3fb55555
	;; [unrolled: 1-line block ×4, first 2 shown]
	s_waitcnt vmcnt(0)
	v_add_f64 v[14:15], v[14:15], -v[12:13]
	scratch_load_dwordx2 v[12:13], off, off offset:80 ; 8-byte Folded Reload
	v_mul_f64 v[14:15], v[14:15], s[2:3]
	s_waitcnt vmcnt(0)
	v_add_f64 v[16:17], v[12:13], -v[56:57]
	v_fma_f64 v[14:15], v[16:17], s[12:13], -v[14:15]
	scratch_load_dwordx2 v[12:13], off, off offset:120 ; 8-byte Folded Reload
	scratch_load_dwordx2 v[16:17], off, off offset:104 ; 8-byte Folded Reload
	s_waitcnt vmcnt(0)
	v_add_f64 v[16:17], v[16:17], -v[12:13]
	scratch_load_dwordx2 v[12:13], off, off offset:112 ; 8-byte Folded Reload
	scratch_load_dwordx2 v[18:19], off, off offset:96 ; 8-byte Folded Reload
	v_mul_f64 v[16:17], v[16:17], s[2:3]
	s_waitcnt vmcnt(0)
	v_add_f64 v[18:19], v[18:19], -v[12:13]
	scratch_load_dwordx2 v[12:13], off, off offset:728 ; 8-byte Folded Reload
	v_fma_f64 v[16:17], v[18:19], s[12:13], -v[16:17]
	s_waitcnt vmcnt(0)
	v_mul_f64 v[16:17], v[12:13], v[16:17]
	scratch_load_dwordx2 v[12:13], off, off offset:736 ; 8-byte Folded Reload
	s_waitcnt vmcnt(0)
	v_fma_f64 v[12:13], v[12:13], v[14:15], -v[16:17]
	scratch_store_dwordx2 off, v[12:13], off offset:728 ; 8-byte Folded Spill
	scratch_load_dwordx2 v[12:13], off, off offset:160 ; 8-byte Folded Reload
	s_nop 0
	scratch_load_dwordx2 v[14:15], off, off offset:136 ; 8-byte Folded Reload
	s_waitcnt vmcnt(0)
	v_add_f64 v[14:15], v[14:15], -v[12:13]
	scratch_load_dwordx2 v[12:13], off, off offset:144 ; 8-byte Folded Reload
	scratch_load_dwordx2 v[16:17], off, off offset:128 ; 8-byte Folded Reload
	v_mul_f64 v[14:15], v[14:15], s[2:3]
	s_waitcnt vmcnt(0)
	v_add_f64 v[16:17], v[16:17], -v[12:13]
	v_fma_f64 v[14:15], v[16:17], s[12:13], -v[14:15]
	scratch_load_dwordx2 v[12:13], off, off offset:224 ; 8-byte Folded Reload
	scratch_load_dwordx2 v[16:17], off, off offset:192 ; 8-byte Folded Reload
	s_waitcnt vmcnt(0)
	v_add_f64 v[16:17], v[16:17], -v[12:13]
	scratch_load_dwordx2 v[12:13], off, off offset:168 ; 8-byte Folded Reload
	scratch_load_dwordx2 v[18:19], off, off offset:176 ; 8-byte Folded Reload
	v_mul_f64 v[16:17], v[16:17], s[2:3]
	s_waitcnt vmcnt(0)
	v_add_f64 v[18:19], v[18:19], -v[12:13]
	scratch_load_dwordx2 v[12:13], off, off offset:712 ; 8-byte Folded Reload
	v_fma_f64 v[16:17], v[18:19], s[12:13], -v[16:17]
	s_waitcnt vmcnt(0)
	v_mul_f64 v[16:17], v[12:13], v[16:17]
	scratch_load_dwordx2 v[12:13], off, off offset:720 ; 8-byte Folded Reload
	s_waitcnt vmcnt(0)
	v_fma_f64 v[12:13], v[12:13], v[14:15], -v[16:17]
	scratch_store_dwordx2 off, v[12:13], off offset:712 ; 8-byte Folded Spill
	scratch_load_dwordx2 v[12:13], off, off offset:200 ; 8-byte Folded Reload
	s_nop 0
	scratch_load_dwordx2 v[14:15], off, off offset:152 ; 8-byte Folded Reload
	s_waitcnt vmcnt(0)
	v_add_f64 v[14:15], v[14:15], -v[12:13]
	scratch_load_dwordx2 v[12:13], off, off offset:216 ; 8-byte Folded Reload
	scratch_load_dwordx2 v[16:17], off, off offset:184 ; 8-byte Folded Reload
	v_mul_f64 v[14:15], v[14:15], s[2:3]
	s_waitcnt vmcnt(0)
	v_add_f64 v[16:17], v[16:17], -v[12:13]
	v_fma_f64 v[14:15], v[16:17], s[12:13], -v[14:15]
	scratch_load_dwordx2 v[12:13], off, off offset:240 ; 8-byte Folded Reload
	scratch_load_dwordx2 v[16:17], off, off offset:208 ; 8-byte Folded Reload
	s_waitcnt vmcnt(0)
	v_add_f64 v[16:17], v[16:17], -v[12:13]
	scratch_load_dwordx2 v[12:13], off, off offset:256 ; 8-byte Folded Reload
	scratch_load_dwordx2 v[18:19], off, off offset:232 ; 8-byte Folded Reload
	v_mul_f64 v[16:17], v[16:17], s[2:3]
	s_waitcnt vmcnt(0)
	v_add_f64 v[18:19], v[18:19], -v[12:13]
	scratch_load_dwordx2 v[22:23], off, off ; 8-byte Folded Reload
	scratch_load_dwordx2 v[12:13], off, off offset:32 ; 8-byte Folded Reload
	v_fma_f64 v[16:17], v[18:19], s[12:13], -v[16:17]
	s_waitcnt vmcnt(0)
	v_mul_f64 v[18:19], v[22:23], v[12:13]
	v_mul_f64 v[18:19], v[22:23], v[18:19]
	;; [unrolled: 1-line block ×3, first 2 shown]
	scratch_load_dwordx2 v[12:13], off, off offset:48 ; 8-byte Folded Reload
	scratch_load_dwordx2 v[18:19], off, off offset:56 ; 8-byte Folded Reload
	s_waitcnt vmcnt(0)
	v_mul_f64 v[18:19], v[12:13], v[18:19]
	v_mul_f64 v[18:19], v[12:13], v[18:19]
	v_fma_f64 v[12:13], v[18:19], v[14:15], -v[16:17]
	scratch_store_dwordx2 off, v[12:13], off offset:720 ; 8-byte Folded Spill
	scratch_load_dwordx2 v[12:13], off, off offset:272 ; 8-byte Folded Reload
	s_nop 0
	scratch_load_dwordx2 v[14:15], off, off offset:248 ; 8-byte Folded Reload
	s_waitcnt vmcnt(0)
	v_add_f64 v[14:15], v[14:15], -v[12:13]
	scratch_load_dwordx2 v[12:13], off, off offset:288 ; 8-byte Folded Reload
	scratch_load_dwordx2 v[16:17], off, off offset:264 ; 8-byte Folded Reload
	v_mul_f64 v[14:15], v[14:15], s[2:3]
	s_waitcnt vmcnt(0)
	v_add_f64 v[18:19], v[16:17], -v[12:13]
	scratch_load_dwordx2 v[12:13], off, off offset:304 ; 8-byte Folded Reload
	scratch_load_dwordx2 v[16:17], off, off offset:280 ; 8-byte Folded Reload
	v_fma_f64 v[14:15], v[18:19], s[12:13], -v[14:15]
	scratch_store_dwordx2 off, v[24:25], off offset:872 ; 8-byte Folded Spill
	s_waitcnt vmcnt(1)
	v_add_f64 v[18:19], v[16:17], -v[12:13]
	scratch_load_dwordx2 v[12:13], off, off offset:296 ; 8-byte Folded Reload
	v_mul_f64 v[18:19], v[18:19], s[2:3]
	s_waitcnt vmcnt(0)
	v_add_f64 v[58:59], v[12:13], -v[24:25]
	scratch_load_dwordx2 v[16:17], off, off offset:8 ; 8-byte Folded Reload
	scratch_load_dwordx2 v[12:13], off, off offset:16 ; 8-byte Folded Reload
	v_fma_f64 v[18:19], v[58:59], s[12:13], -v[18:19]
	s_waitcnt vmcnt(0)
	v_mul_f64 v[58:59], v[16:17], v[12:13]
	v_mul_f64 v[58:59], v[16:17], v[58:59]
	scratch_load_dwordx2 v[16:17], off, off offset:24 ; 8-byte Folded Reload
	scratch_load_dwordx2 v[12:13], off, off offset:40 ; 8-byte Folded Reload
	v_mul_f64 v[18:19], v[58:59], v[18:19]
	scratch_load_dwordx4 v[26:29], off, off offset:536 ; 16-byte Folded Reload
	scratch_load_dwordx2 v[32:33], off, off offset:480 ; 8-byte Folded Reload
	s_waitcnt vmcnt(2)
	v_mul_f64 v[58:59], v[16:17], v[12:13]
	v_mul_f64 v[58:59], v[16:17], v[58:59]
	v_fma_f64 v[12:13], v[58:59], v[14:15], -v[18:19]
	scratch_store_dwordx2 off, v[12:13], off offset:736 ; 8-byte Folded Spill
	scratch_load_dwordx2 v[12:13], off, off offset:704 ; 8-byte Folded Reload
	s_waitcnt vmcnt(2)
	v_mul_f64 v[18:19], v[32:33], v[44:45]
	scratch_store_dwordx2 off, v[56:57], off offset:704 ; 8-byte Folded Spill
	scratch_load_dwordx4 v[54:57], off, off offset:448 ; 16-byte Folded Reload
	s_waitcnt vmcnt(2)
	v_mul_f64 v[14:15], v[12:13], v[40:41]
	scratch_load_dwordx2 v[12:13], off, off offset:696 ; 8-byte Folded Reload
	scratch_load_dwordx2 v[16:17], off, off offset:608 ; 8-byte Folded Reload
	s_waitcnt vmcnt(2)
	v_mul_f64 v[18:19], v[54:55], v[18:19]
	v_mul_f64 v[14:15], v[54:55], v[14:15]
	;; [unrolled: 1-line block ×5, first 2 shown]
	v_fmac_f64_e32 v[48:49], v[8:9], v[14:15]
	v_mul_f64 v[14:15], v[32:33], v[36:37]
	v_mul_f64 v[14:15], v[54:55], v[14:15]
	v_fmac_f64_e32 v[48:49], v[62:63], v[14:15]
	s_waitcnt vmcnt(1)
	v_mul_f64 v[14:15], v[12:13], v[42:43]
	scratch_load_dwordx2 v[12:13], off, off offset:64 ; 8-byte Folded Reload
	v_mul_f64 v[14:15], v[56:57], v[14:15]
	v_mul_f64 v[14:15], v[28:29], v[14:15]
	s_waitcnt vmcnt(1)
	v_mul_f64 v[42:43], v[16:17], v[42:43]
	s_waitcnt vmcnt(0)
	v_mul_f64 v[18:19], v[12:13], v[46:47]
	v_mov_b64_e32 v[22:23], v[12:13]
	scratch_load_dwordx2 v[12:13], off, off offset:600 ; 8-byte Folded Reload
	v_mul_f64 v[18:19], v[56:57], v[18:19]
	v_mul_f64 v[18:19], v[100:101], v[18:19]
	;; [unrolled: 1-line block ×3, first 2 shown]
	v_fmac_f64_e32 v[18:19], v[52:53], v[14:15]
	s_waitcnt vmcnt(0)
	v_mul_f64 v[14:15], v[12:13], v[44:45]
	v_mul_f64 v[44:45], v[16:17], v[46:47]
	;; [unrolled: 1-line block ×3, first 2 shown]
	scratch_load_dwordx2 v[16:17], off, off offset:464 ; 8-byte Folded Reload
	v_mul_f64 v[38:39], v[22:23], v[38:39]
	v_mul_f64 v[40:41], v[12:13], v[40:41]
	;; [unrolled: 1-line block ×3, first 2 shown]
	v_fmac_f64_e32 v[18:19], v[96:97], v[38:39]
	v_mul_f64 v[38:39], v[54:55], v[40:41]
	v_mul_f64 v[10:11], v[10:11], v[38:39]
	;; [unrolled: 1-line block ×6, first 2 shown]
	s_waitcnt vmcnt(0)
	v_mul_f64 v[10:11], v[16:17], v[10:11]
	v_fmac_f64_e32 v[10:11], v[8:9], v[14:15]
	v_mul_f64 v[14:15], v[54:55], v[36:37]
	v_mul_f64 v[8:9], v[8:9], v[14:15]
	;; [unrolled: 1-line block ×3, first 2 shown]
	v_fmac_f64_e32 v[8:9], v[26:27], v[14:15]
	v_mul_f64 v[14:15], v[56:57], v[42:43]
	v_mul_f64 v[36:37], v[56:57], v[46:47]
	;; [unrolled: 1-line block ×5, first 2 shown]
	v_fmac_f64_e32 v[78:79], v[28:29], v[14:15]
	v_mul_f64 v[14:15], v[28:29], v[38:39]
	scratch_store_dwordx2 off, v[8:9], off offset:600 ; 8-byte Folded Spill
	v_mul_f64 v[8:9], v[16:17], v[14:15]
	v_fmac_f64_e32 v[8:9], v[52:53], v[40:41]
	scratch_store_dwordx2 off, v[10:11], off offset:608 ; 8-byte Folded Spill
	scratch_store_dwordx2 off, v[8:9], off offset:536 ; 8-byte Folded Spill
	scratch_load_dwordx2 v[8:9], off, off offset:624 ; 8-byte Folded Reload
	s_nop 0
	scratch_load_dwordx4 v[58:61], off, off offset:824 ; 16-byte Folded Reload
	scratch_load_dwordx2 v[12:13], off, off offset:576 ; 8-byte Folded Reload
	s_waitcnt vmcnt(1)
	v_mul_f64 v[14:15], v[8:9], v[60:61]
	scratch_load_dwordx2 v[8:9], off, off offset:520 ; 8-byte Folded Reload
	scratch_load_dwordx2 v[10:11], off, off offset:528 ; 8-byte Folded Reload
	scratch_load_dwordx4 v[22:25], off, off offset:856 ; 16-byte Folded Reload
	scratch_load_dwordx4 v[36:39], off, off offset:840 ; 16-byte Folded Reload
	scratch_load_dwordx2 v[28:29], off, off offset:584 ; 8-byte Folded Reload
	s_waitcnt vmcnt(4)
	v_mul_f64 v[14:15], v[8:9], v[14:15]
	s_waitcnt vmcnt(2)
	v_mul_f64 v[40:41], v[10:11], v[24:25]
	v_mul_f64 v[40:41], v[8:9], v[40:41]
	;; [unrolled: 1-line block ×5, first 2 shown]
	s_waitcnt vmcnt(0)
	v_mul_f64 v[26:27], v[28:29], v[60:61]
	v_fmac_f64_e32 v[40:41], v[118:119], v[14:15]
	v_mul_f64 v[14:15], v[10:11], v[38:39]
	v_mul_f64 v[26:27], v[8:9], v[26:27]
	v_mul_f64 v[14:15], v[8:9], v[14:15]
	v_mul_f64 v[34:35], v[86:87], v[26:27]
	v_fmac_f64_e32 v[40:41], v[66:67], v[14:15]
	v_mul_f64 v[14:15], v[28:29], v[24:25]
	v_mul_f64 v[34:35], v[12:13], v[34:35]
	v_mul_f64 v[14:15], v[8:9], v[14:15]
	;; [unrolled: 5-line block ×3, first 2 shown]
	v_mul_f64 v[14:15], v[66:67], v[26:27]
	v_fmac_f64_e32 v[34:35], v[12:13], v[14:15]
	scratch_load_dwordx2 v[12:13], off, off offset:760 ; 8-byte Folded Reload
	scratch_load_dwordx2 v[28:29], off, off offset:768 ; 8-byte Folded Reload
	;; [unrolled: 1-line block ×6, first 2 shown]
	s_waitcnt vmcnt(4)
	v_fma_f64 v[14:15], 2.0, v[12:13], v[28:29]
	s_waitcnt vmcnt(3)
	v_mul_f64 v[26:27], v[14:15], v[86:87]
	s_waitcnt vmcnt(2)
	v_mul_f64 v[30:31], v[4:5], v[66:67]
	v_mul_f64 v[30:31], v[66:67], v[30:31]
	;; [unrolled: 1-line block ×4, first 2 shown]
	s_waitcnt vmcnt(1)
	v_fma_f64 v[44:45], v[62:63], v[62:63], v[30:31]
	v_mul_f64 v[26:27], v[86:87], v[26:27]
	v_mul_f64 v[44:45], v[12:13], v[44:45]
	;; [unrolled: 1-line block ×3, first 2 shown]
	v_fmac_f64_e32 v[44:45], v[0:1], v[26:27]
	v_mul_f64 v[26:27], v[14:15], v[66:67]
	v_mul_f64 v[46:47], v[86:87], v[46:47]
	v_mul_f64 v[52:53], v[62:63], v[62:63]
	v_mul_f64 v[26:27], v[4:5], v[26:27]
	v_fmac_f64_e32 v[52:53], v[0:1], v[46:47]
	v_mul_f64 v[26:27], v[66:67], v[26:27]
	v_mul_f64 v[52:53], v[12:13], v[52:53]
	v_fmac_f64_e32 v[52:53], v[4:5], v[26:27]
	v_add_f64 v[26:27], v[12:13], v[28:29]
	scratch_load_dwordx2 v[28:29], off, off offset:752 ; 8-byte Folded Reload
	v_fmac_f64_e32 v[30:31], v[0:1], v[46:47]
	v_mul_f64 v[30:31], v[12:13], v[30:31]
	v_mul_f64 v[14:15], v[14:15], v[62:63]
	v_fmac_f64_e32 v[30:31], v[62:63], v[14:15]
	s_waitcnt vmcnt(0)
	v_mul_f64 v[14:15], v[28:29], v[26:27]
	v_mul_f64 v[26:27], v[86:87], v[14:15]
	;; [unrolled: 1-line block ×7, first 2 shown]
	scratch_load_dwordx2 v[52:53], off, off offset:808 ; 8-byte Folded Reload
	scratch_load_dwordx2 v[62:63], off, off offset:816 ; 8-byte Folded Reload
	v_mul_f64 v[44:45], v[28:29], v[44:45]
	v_mul_f64 v[44:45], v[74:75], v[44:45]
	;; [unrolled: 1-line block ×4, first 2 shown]
	s_waitcnt vmcnt(1)
	v_mul_f64 v[44:45], v[52:53], v[44:45]
	s_waitcnt vmcnt(0)
	v_mul_f64 v[46:47], v[62:63], v[46:47]
	v_fmac_f64_e32 v[44:45], v[12:13], v[62:63]
	v_fmac_f64_e32 v[46:47], v[12:13], v[52:53]
	v_mul_f64 v[12:13], v[16:17], v[26:27]
	v_mul_f64 v[26:27], v[14:15], v[62:63]
	v_fmac_f64_e32 v[26:27], v[52:53], v[12:13]
	scratch_load_dwordx2 v[52:53], off, off offset:800 ; 8-byte Folded Reload
	s_waitcnt vmcnt(0)
	v_fmac_f64_e32 v[44:45], v[12:13], v[52:53]
	v_mul_f64 v[12:13], v[28:29], v[30:31]
	v_mul_f64 v[12:13], v[74:75], v[12:13]
	v_fmac_f64_e32 v[26:27], v[52:53], v[12:13]
	v_mul_f64 v[12:13], v[10:11], v[8:9]
	v_mul_f64 v[12:13], v[8:9], v[12:13]
	scratch_load_dwordx2 v[8:9], off, off offset:72 ; 8-byte Folded Reload
	scratch_load_dwordx2 v[10:11], off, off offset:104 ; 8-byte Folded Reload
	v_fmac_f64_e32 v[46:47], v[14:15], v[52:53]
	v_add_f64 v[44:45], v[124:125], v[44:45]
	v_add_f64 v[46:47], v[72:73], v[46:47]
	s_waitcnt vmcnt(0)
	v_add_f64 v[14:15], v[8:9], -v[10:11]
	scratch_load_dwordx2 v[8:9], off, off offset:136 ; 8-byte Folded Reload
	scratch_load_dwordx2 v[10:11], off, off offset:192 ; 8-byte Folded Reload
	v_mul_f64 v[14:15], v[14:15], s[2:3]
	s_waitcnt vmcnt(0)
	v_add_f64 v[30:31], v[8:9], -v[10:11]
	scratch_load_dwordx2 v[8:9], off, off offset:88 ; 8-byte Folded Reload
	scratch_load_dwordx2 v[10:11], off, off offset:120 ; 8-byte Folded Reload
	v_fma_f64 v[14:15], v[30:31], s[12:13], -v[14:15]
	s_waitcnt vmcnt(0)
	v_add_f64 v[30:31], v[8:9], -v[10:11]
	scratch_load_dwordx2 v[8:9], off, off offset:160 ; 8-byte Folded Reload
	scratch_load_dwordx2 v[10:11], off, off offset:224 ; 8-byte Folded Reload
	v_mul_f64 v[30:31], v[30:31], s[2:3]
	s_waitcnt vmcnt(0)
	v_add_f64 v[52:53], v[8:9], -v[10:11]
	v_fma_f64 v[30:31], v[52:53], s[12:13], -v[30:31]
	v_mul_f64 v[52:53], v[32:33], v[54:55]
	v_mul_f64 v[52:53], v[54:55], v[52:53]
	v_mov_b64_e32 v[54:55], v[16:17]
	scratch_load_dwordx2 v[16:17], off, off offset:504 ; 8-byte Folded Reload
	scratch_load_dwordx2 v[8:9], off, off offset:512 ; 8-byte Folded Reload
	;; [unrolled: 1-line block ×3, first 2 shown]
	v_mul_f64 v[30:31], v[52:53], v[30:31]
	v_fma_f64 v[30:31], v[12:13], v[14:15], -v[30:31]
	s_waitcnt vmcnt(1)
	v_mul_f64 v[14:15], v[8:9], v[22:23]
	s_waitcnt vmcnt(0)
	v_mul_f64 v[32:33], v[10:11], v[58:59]
	v_mul_f64 v[24:25], v[8:9], v[58:59]
	;; [unrolled: 1-line block ×3, first 2 shown]
	scratch_load_dwordx4 v[8:11], off, off offset:488 ; 16-byte Folded Reload
	scratch_load_dwordx2 v[8:9], off, off offset:64 ; 8-byte Folded Reload
	v_mul_f64 v[28:29], v[16:17], v[36:37]
	v_mul_f64 v[12:13], v[16:17], v[22:23]
	s_waitcnt vmcnt(1)
	v_mul_f64 v[62:63], v[10:11], v[28:29]
	v_mul_f64 v[28:29], v[16:17], v[10:11]
	;; [unrolled: 1-line block ×8, first 2 shown]
	s_waitcnt vmcnt(0)
	v_mul_f64 v[66:67], v[8:9], v[56:57]
	scratch_load_dwordx2 v[8:9], off, off offset:80 ; 8-byte Folded Reload
	scratch_load_dwordx2 v[10:11], off, off offset:96 ; 8-byte Folded Reload
	v_mul_f64 v[66:67], v[56:57], v[66:67]
	v_mul_f64 v[12:13], v[120:121], v[12:13]
	;; [unrolled: 1-line block ×3, first 2 shown]
	s_waitcnt vmcnt(0)
	v_add_f64 v[74:75], v[8:9], -v[10:11]
	scratch_load_dwordx2 v[8:9], off, off offset:128 ; 8-byte Folded Reload
	scratch_load_dwordx2 v[10:11], off, off offset:176 ; 8-byte Folded Reload
	v_mul_f64 v[74:75], v[74:75], s[2:3]
	s_waitcnt vmcnt(0)
	v_add_f64 v[86:87], v[8:9], -v[10:11]
	scratch_load_dwordx2 v[8:9], off, off offset:112 ; 8-byte Folded Reload
	scratch_load_dwordx2 v[10:11], off, off offset:704 ; 8-byte Folded Reload
	v_fma_f64 v[74:75], v[86:87], s[12:13], -v[74:75]
	s_waitcnt vmcnt(0)
	v_add_f64 v[86:87], v[10:11], -v[8:9]
	scratch_load_dwordx2 v[8:9], off, off offset:144 ; 8-byte Folded Reload
	scratch_load_dwordx2 v[10:11], off, off offset:168 ; 8-byte Folded Reload
	v_mul_f64 v[86:87], v[86:87], s[2:3]
	s_waitcnt vmcnt(0)
	v_add_f64 v[96:97], v[8:9], -v[10:11]
	scratch_load_dwordx2 v[8:9], off, off offset:152 ; 8-byte Folded Reload
	scratch_load_dwordx2 v[10:11], off, off offset:208 ; 8-byte Folded Reload
	v_fma_f64 v[86:87], v[96:97], s[12:13], -v[86:87]
	v_mul_f64 v[66:67], v[66:67], v[86:87]
	v_fma_f64 v[28:29], v[28:29], v[74:75], -v[66:67]
	s_waitcnt vmcnt(0)
	v_add_f64 v[66:67], v[8:9], -v[10:11]
	scratch_load_dwordx2 v[8:9], off, off offset:248 ; 8-byte Folded Reload
	scratch_load_dwordx2 v[10:11], off, off offset:280 ; 8-byte Folded Reload
	v_mul_f64 v[66:67], v[66:67], s[2:3]
	s_waitcnt vmcnt(0)
	v_add_f64 v[74:75], v[8:9], -v[10:11]
	scratch_load_dwordx2 v[8:9], off, off offset:200 ; 8-byte Folded Reload
	scratch_load_dwordx2 v[10:11], off, off offset:240 ; 8-byte Folded Reload
	v_fma_f64 v[66:67], v[74:75], s[12:13], -v[66:67]
	s_waitcnt vmcnt(0)
	v_add_f64 v[74:75], v[8:9], -v[10:11]
	scratch_load_dwordx2 v[8:9], off, off offset:272 ; 8-byte Folded Reload
	scratch_load_dwordx2 v[10:11], off, off offset:304 ; 8-byte Folded Reload
	v_mul_f64 v[74:75], v[74:75], s[2:3]
	s_waitcnt vmcnt(0)
	v_add_f64 v[86:87], v[8:9], -v[10:11]
	scratch_load_dwordx2 v[8:9], off, off offset:648 ; 8-byte Folded Reload
	v_fma_f64 v[74:75], v[86:87], s[12:13], -v[74:75]
	s_waitcnt vmcnt(0)
	v_mul_f64 v[74:75], v[8:9], v[74:75]
	scratch_load_dwordx2 v[8:9], off, off offset:680 ; 8-byte Folded Reload
	s_waitcnt vmcnt(0)
	v_fma_f64 v[66:67], v[8:9], v[66:67], -v[74:75]
	scratch_load_dwordx2 v[8:9], off, off offset:184 ; 8-byte Folded Reload
	scratch_load_dwordx2 v[10:11], off, off offset:232 ; 8-byte Folded Reload
	s_waitcnt vmcnt(0)
	v_add_f64 v[74:75], v[8:9], -v[10:11]
	scratch_load_dwordx2 v[8:9], off, off offset:264 ; 8-byte Folded Reload
	scratch_load_dwordx2 v[10:11], off, off offset:296 ; 8-byte Folded Reload
	v_mul_f64 v[74:75], v[74:75], s[2:3]
	s_waitcnt vmcnt(0)
	v_add_f64 v[86:87], v[8:9], -v[10:11]
	scratch_load_dwordx2 v[8:9], off, off offset:216 ; 8-byte Folded Reload
	scratch_load_dwordx2 v[10:11], off, off offset:256 ; 8-byte Folded Reload
	v_fma_f64 v[74:75], v[86:87], s[12:13], -v[74:75]
	s_waitcnt vmcnt(0)
	v_add_f64 v[86:87], v[8:9], -v[10:11]
	scratch_load_dwordx2 v[8:9], off, off offset:288 ; 8-byte Folded Reload
	scratch_load_dwordx2 v[10:11], off, off offset:872 ; 8-byte Folded Reload
	v_mul_f64 v[86:87], v[86:87], s[2:3]
	s_waitcnt vmcnt(0)
	v_add_f64 v[96:97], v[8:9], -v[10:11]
	scratch_load_dwordx2 v[8:9], off, off offset:632 ; 8-byte Folded Reload
	v_fma_f64 v[86:87], v[96:97], s[12:13], -v[86:87]
	s_waitcnt vmcnt(0)
	v_mul_f64 v[86:87], v[8:9], v[86:87]
	scratch_load_dwordx2 v[8:9], off, off offset:640 ; 8-byte Folded Reload
	s_waitcnt vmcnt(0)
	v_fma_f64 v[74:75], v[8:9], v[74:75], -v[86:87]
	scratch_load_dwordx2 v[8:9], off, off offset:728 ; 8-byte Folded Reload
	s_waitcnt vmcnt(0)
	v_mul_f64 v[22:23], v[8:9], s[2:3]
	scratch_load_dwordx2 v[8:9], off, off offset:712 ; 8-byte Folded Reload
	s_waitcnt vmcnt(0)
	v_fma_f64 v[22:23], v[8:9], s[12:13], -v[22:23]
	scratch_load_dwordx2 v[8:9], off, off offset:720 ; 8-byte Folded Reload
	v_add_f64 v[56:57], v[44:45], v[22:23]
	v_mul_f64 v[22:23], v[2:3], v[32:33]
	v_fmac_f64_e32 v[12:13], v[70:71], v[22:23]
	v_fmac_f64_e32 v[12:13], v[64:65], v[62:63]
	v_add_f64 v[12:13], v[12:13], -v[18:19]
	s_waitcnt vmcnt(0)
	v_mul_f64 v[16:17], v[8:9], s[2:3]
	scratch_load_dwordx2 v[8:9], off, off offset:736 ; 8-byte Folded Reload
	s_waitcnt vmcnt(0)
	v_fma_f64 v[16:17], v[8:9], s[12:13], -v[16:17]
	scratch_load_dwordx2 v[8:9], off, off offset:608 ; 8-byte Folded Reload
	v_add_f64 v[46:47], v[46:47], v[16:17]
	v_add_f64 v[16:17], v[40:41], -v[48:49]
	v_mul_f64 v[16:17], v[16:17], s[2:3]
	v_fma_f64 v[32:33], v[12:13], s[12:13], -v[16:17]
	v_mul_f64 v[12:13], v[120:121], v[24:25]
	v_mul_f64 v[12:13], v[2:3], v[12:13]
	;; [unrolled: 1-line block ×3, first 2 shown]
	v_fmac_f64_e32 v[12:13], v[70:71], v[14:15]
	s_waitcnt vmcnt(0)
	v_add_f64 v[10:11], v[42:43], -v[8:9]
	scratch_load_dwordx2 v[8:9], off, off offset:536 ; 8-byte Folded Reload
	v_mul_f64 v[10:11], v[10:11], s[2:3]
	s_waitcnt vmcnt(0)
	v_add_f64 v[12:13], v[12:13], -v[8:9]
	scratch_load_dwordx2 v[8:9], off, off offset:600 ; 8-byte Folded Reload
	v_fma_f64 v[38:39], v[12:13], s[12:13], -v[10:11]
	v_mul_f64 v[10:11], v[70:71], v[52:53]
	v_mul_f64 v[12:13], v[64:65], v[24:25]
	v_fmac_f64_e32 v[10:11], v[2:3], v[12:13]
	v_add_f64 v[2:3], v[10:11], -v[78:79]
	s_waitcnt vmcnt(0)
	v_add_f64 v[8:9], v[34:35], -v[8:9]
	v_mul_f64 v[8:9], v[8:9], s[2:3]
	v_fma_f64 v[8:9], v[2:3], s[12:13], -v[8:9]
	scratch_load_dwordx2 v[2:3], off, off offset:688 ; 8-byte Folded Reload
	s_waitcnt vmcnt(0)
	v_lshl_add_u64 v[2:3], v[2:3], 3, s[10:11]
	global_load_dwordx2 v[24:25], v[2:3], off
	s_nop 0
	scratch_load_dwordx2 v[2:3], off, off offset:616 ; 8-byte Folded Reload
	s_waitcnt vmcnt(0)
	v_lshl_add_u64 v[2:3], v[2:3], 3, s[10:11]
	global_load_dwordx2 v[44:45], v[2:3], off
	s_nop 0
	;; [unrolled: 5-line block ×7, first 2 shown]
	scratch_load_dwordx2 v[2:3], off, off offset:560 ; 8-byte Folded Reload
	scratch_load_dwordx2 v[70:71], off, off offset:408 ; 8-byte Folded Reload
	;; [unrolled: 1-line block ×3, first 2 shown]
	scratch_load_dword v21, off, off offset:444 ; 4-byte Folded Reload
	scratch_load_dwordx2 v[48:49], off, off offset:48 ; 8-byte Folded Reload
	scratch_load_dwordx2 v[78:79], off, off offset:24 ; 8-byte Folded Reload
	scratch_load_dwordx2 v[60:61], off, off offset:352 ; 8-byte Folded Reload
	scratch_load_dwordx2 v[58:59], off, off offset:344 ; 8-byte Folded Reload
	scratch_load_dwordx4 v[62:65], off, off offset:360 ; 16-byte Folded Reload
	s_waitcnt vmcnt(8)
	v_lshl_add_u64 v[2:3], v[2:3], 3, s[10:11]
	global_load_dwordx2 v[12:13], v[2:3], off
	v_mul_f64 v[2:3], v[30:31], s[2:3]
	v_fma_f64 v[28:29], v[28:29], s[12:13], -v[2:3]
	v_mul_f64 v[2:3], v[66:67], s[2:3]
	v_fma_f64 v[30:31], v[74:75], s[12:13], -v[2:3]
	scratch_load_dwordx2 v[74:75], off, off ; 8-byte Folded Reload
	scratch_load_dwordx2 v[66:67], off, off offset:376 ; 8-byte Folded Reload
	v_add_f64 v[52:53], v[28:29], v[56:57]
	scratch_load_dwordx2 v[56:57], off, off offset:8 ; 8-byte Folded Reload
	v_add_f64 v[2:3], v[126:127], v[26:27]
	v_fmac_f64_e32 v[2:3], v[54:55], v[8:9]
	s_waitcnt vmcnt(11)
	v_mul_f64 v[8:9], v[70:71], v[24:25]
	s_waitcnt vmcnt(8)
	v_mul_f64 v[28:29], v[48:49], v[8:9]
	v_mul_f64 v[8:9], v[106:107], v[28:29]
	v_add_f64 v[26:27], v[30:31], v[46:47]
	v_mul_f64 v[8:9], v[72:73], v[8:9]
	v_mul_f64 v[30:31], v[70:71], v[44:45]
	;; [unrolled: 1-line block ×4, first 2 shown]
	v_fmac_f64_e32 v[8:9], v[102:103], v[30:31]
	s_waitcnt vmcnt(6)
	v_mul_f64 v[30:31], v[60:61], v[18:19]
	v_fmac_f64_e32 v[52:53], v[54:55], v[32:33]
	v_mul_f64 v[34:35], v[60:61], v[22:23]
	v_add_f64 v[26:27], v[26:27], v[38:39]
	s_waitcnt vmcnt(3)
	v_mul_f64 v[40:41], v[58:59], v[12:13]
	s_waitcnt vmcnt(2)
	v_mul_f64 v[30:31], v[74:75], v[30:31]
	v_mul_f64 v[32:33], v[98:99], v[30:31]
	;; [unrolled: 1-line block ×5, first 2 shown]
	v_fmac_f64_e32 v[32:33], v[94:95], v[34:35]
	v_add_f64 v[8:9], v[8:9], -v[32:33]
	s_waitcnt vmcnt(1)
	v_mul_f64 v[32:33], v[66:67], v[14:15]
	v_mul_f64 v[32:33], v[78:79], v[32:33]
	;; [unrolled: 1-line block ×7, first 2 shown]
	v_fmac_f64_e32 v[36:37], v[116:117], v[34:35]
	v_mul_f64 v[34:35], v[58:59], v[10:11]
	s_waitcnt vmcnt(0)
	v_mul_f64 v[34:35], v[56:57], v[34:35]
	v_mul_f64 v[38:39], v[82:83], v[34:35]
	;; [unrolled: 1-line block ×5, first 2 shown]
	v_fmac_f64_e32 v[38:39], v[108:109], v[40:41]
	v_add_u32_e32 v40, s14, v21
	v_ashrrev_i32_e32 v41, 31, v40
	v_lshl_add_u64 v[40:41], v[40:41], 3, s[10:11]
	global_load_dwordx2 v[42:43], v[40:41], off
	scratch_load_dword v21, off, off offset:432 ; 4-byte Folded Reload
	v_add_f64 v[46:47], v[36:37], -v[38:39]
	v_mul_f64 v[8:9], v[8:9], s[2:3]
	v_fma_f64 v[8:9], v[46:47], s[12:13], -v[8:9]
	v_add_f64 v[8:9], v[52:53], v[8:9]
	s_waitcnt vmcnt(0)
	v_add_u32_e32 v40, s14, v21
	scratch_load_dword v21, off, off offset:440 ; 4-byte Folded Reload
	v_ashrrev_i32_e32 v41, 31, v40
	v_lshl_add_u64 v[40:41], v[40:41], 3, s[10:11]
	global_load_dwordx2 v[40:41], v[40:41], off
	s_waitcnt vmcnt(1)
	v_add_u32_e32 v36, s14, v21
	v_ashrrev_i32_e32 v37, 31, v36
	v_lshl_add_u64 v[36:37], v[36:37], 3, s[10:11]
	global_load_dwordx2 v[38:39], v[36:37], off
	scratch_load_dword v21, off, off offset:436 ; 4-byte Folded Reload
	scratch_load_dwordx2 v[52:53], off, off offset:56 ; 8-byte Folded Reload
	scratch_load_dwordx2 v[46:47], off, off offset:424 ; 8-byte Folded Reload
	s_waitcnt vmcnt(2)
	v_add_u32_e32 v36, s14, v21
	s_waitcnt vmcnt(1)
	v_mul_f64 v[44:45], v[52:53], v[44:45]
	s_waitcnt vmcnt(0)
	v_mul_f64 v[24:25], v[46:47], v[24:25]
	v_mul_f64 v[24:25], v[48:49], v[24:25]
	;; [unrolled: 1-line block ×6, first 2 shown]
	v_fmac_f64_e32 v[24:25], v[106:107], v[44:45]
	v_mul_f64 v[44:45], v[52:53], v[42:43]
	v_mul_f64 v[44:45], v[48:49], v[44:45]
	;; [unrolled: 1-line block ×3, first 2 shown]
	v_fmac_f64_e32 v[24:25], v[100:101], v[44:45]
	scratch_load_dwordx2 v[44:45], off, off offset:392 ; 8-byte Folded Reload
	scratch_load_dwordx2 v[52:53], off, off offset:32 ; 8-byte Folded Reload
	v_mov_b64_e32 v[46:47], v[74:75]
	v_ashrrev_i32_e32 v37, 31, v36
	v_lshl_add_u64 v[36:37], v[36:37], 3, s[10:11]
	global_load_dwordx2 v[36:37], v[36:37], off
	s_waitcnt vmcnt(2)
	v_mul_f64 v[18:19], v[44:45], v[18:19]
	v_mul_f64 v[18:19], v[46:47], v[18:19]
	;; [unrolled: 1-line block ×4, first 2 shown]
	scratch_load_dwordx2 v[44:45], off, off offset:40 ; 8-byte Folded Reload
	s_waitcnt vmcnt(2)
	v_mul_f64 v[22:23], v[52:53], v[22:23]
	v_mul_f64 v[22:23], v[46:47], v[22:23]
	v_mul_f64 v[18:19], v[100:101], v[18:19]
	v_fmac_f64_e32 v[18:19], v[98:99], v[22:23]
	v_mul_f64 v[22:23], v[52:53], v[40:41]
	v_mul_f64 v[22:23], v[46:47], v[22:23]
	;; [unrolled: 1-line block ×3, first 2 shown]
	v_fmac_f64_e32 v[18:19], v[100:101], v[22:23]
	scratch_load_dwordx2 v[22:23], off, off offset:400 ; 8-byte Folded Reload
	v_add_f64 v[18:19], v[24:25], -v[18:19]
	v_mov_b64_e32 v[24:25], v[78:79]
	v_mul_f64 v[18:19], v[18:19], s[2:3]
	s_waitcnt vmcnt(1)
	v_mul_f64 v[16:17], v[44:45], v[16:17]
	v_mul_f64 v[16:17], v[24:25], v[16:17]
	s_waitcnt vmcnt(0)
	v_mul_f64 v[14:15], v[22:23], v[14:15]
	v_mul_f64 v[14:15], v[24:25], v[14:15]
	;; [unrolled: 1-line block ×5, first 2 shown]
	v_fmac_f64_e32 v[14:15], v[84:85], v[16:17]
	v_mul_f64 v[16:17], v[44:45], v[38:39]
	v_mul_f64 v[16:17], v[24:25], v[16:17]
	;; [unrolled: 1-line block ×3, first 2 shown]
	v_fmac_f64_e32 v[14:15], v[100:101], v[16:17]
	scratch_load_dwordx2 v[44:45], off, off offset:16 ; 8-byte Folded Reload
	scratch_load_dwordx2 v[16:17], off, off offset:384 ; 8-byte Folded Reload
	v_mov_b64_e32 v[22:23], v[56:57]
	s_waitcnt vmcnt(1)
	v_mul_f64 v[12:13], v[44:45], v[12:13]
	s_waitcnt vmcnt(0)
	v_mul_f64 v[10:11], v[16:17], v[10:11]
	v_mul_f64 v[10:11], v[22:23], v[10:11]
	;; [unrolled: 1-line block ×6, first 2 shown]
	v_fmac_f64_e32 v[10:11], v[82:83], v[12:13]
	v_mul_f64 v[12:13], v[44:45], v[36:37]
	v_mul_f64 v[12:13], v[22:23], v[12:13]
	;; [unrolled: 1-line block ×3, first 2 shown]
	v_fmac_f64_e32 v[10:11], v[100:101], v[12:13]
	v_add_f64 v[10:11], v[14:15], -v[10:11]
	v_mul_f64 v[14:15], v[70:71], v[42:43]
	v_mul_f64 v[14:15], v[48:49], v[14:15]
	;; [unrolled: 1-line block ×6, first 2 shown]
	v_fmac_f64_e32 v[14:15], v[72:73], v[12:13]
	v_mul_f64 v[12:13], v[110:111], v[30:31]
	v_mul_f64 v[16:17], v[94:95], v[16:17]
	v_fmac_f64_e32 v[16:17], v[62:63], v[12:13]
	v_add_f64 v[12:13], v[14:15], -v[16:17]
	v_mul_f64 v[16:17], v[66:67], v[38:39]
	v_mul_f64 v[16:17], v[24:25], v[16:17]
	;; [unrolled: 1-line block ×4, first 2 shown]
	v_fmac_f64_e32 v[16:17], v[6:7], v[14:15]
	v_mul_f64 v[14:15], v[58:59], v[36:37]
	v_mul_f64 v[14:15], v[22:23], v[14:15]
	v_mul_f64 v[6:7], v[50:51], v[34:35]
	v_mul_f64 v[14:15], v[108:109], v[14:15]
	v_fmac_f64_e32 v[14:15], v[64:65], v[6:7]
	v_mul_f64 v[12:13], v[12:13], s[2:3]
	v_add_f64 v[6:7], v[16:17], -v[14:15]
	v_fma_f64 v[6:7], v[6:7], s[12:13], -v[12:13]
	v_fmac_f64_e32 v[2:3], v[100:101], v[6:7]
	scratch_load_dwordx2 v[6:7], off, off offset:744 ; 8-byte Folded Reload
	v_fma_f64 v[10:11], v[10:11], s[12:13], -v[18:19]
	v_add_f64 v[10:11], v[26:27], v[10:11]
	v_subrev_u32_e32 v31, s18, v76
	v_subrev_u32_e32 v32, s18, v68
	v_subrev_u32_e32 v33, s18, v122
	s_waitcnt vmcnt(0)
	v_subrev_u32_e32 v30, s18, v6
.LBB4_11:                               ; =>This Inner Loop Header: Depth=1
	v_add_u32_e32 v6, s33, v32
	v_add_u32_e32 v12, s33, v33
	;; [unrolled: 1-line block ×16, first 2 shown]
	v_ashrrev_i32_e32 v7, 31, v6
	v_ashrrev_i32_e32 v13, 31, v12
	;; [unrolled: 1-line block ×16, first 2 shown]
	v_lshlrev_b64 v[6:7], 3, v[6:7]
	v_lshlrev_b64 v[12:13], 3, v[12:13]
	v_lshlrev_b64 v[14:15], 3, v[14:15]
	v_lshl_add_u64 v[48:49], v[16:17], 3, s[10:11]
	v_lshl_add_u64 v[16:17], v[18:19], 3, s[4:5]
	;; [unrolled: 1-line block ×21, first 2 shown]
	global_load_dwordx2 v[66:67], v[16:17], off
	global_load_dwordx2 v[70:71], v[18:19], off
	;; [unrolled: 1-line block ×10, first 2 shown]
	s_nop 0
	global_load_dwordx2 v[42:43], v[42:43], off
	s_nop 0
	global_load_dwordx2 v[44:45], v[44:45], off
	;; [unrolled: 2-line block ×6, first 2 shown]
	s_nop 0
	global_load_dwordx4 v[12:15], v[6:7], off offset:8
	global_load_dwordx4 v[16:19], v[6:7], off offset:-16
	s_nop 0
	global_load_dwordx2 v[6:7], v[60:61], off
	global_load_dwordx4 v[22:25], v[62:63], off offset:8
	global_load_dwordx4 v[26:29], v[62:63], off offset:-16
	global_load_dwordx4 v[34:37], v[64:65], off offset:8
	global_load_dwordx4 v[38:41], v[64:65], off offset:-16
	s_nop 0
	global_load_dwordx2 v[48:49], v[48:49], off
	v_ashrrev_i32_e32 v21, 31, v20
	v_lshl_add_u64 v[60:61], v[20:21], 3, s[24:25]
	global_load_dwordx2 v[60:61], v[60:61], off
	s_add_i32 s36, s36, 1
	v_add_u32_e32 v92, s34, v92
	v_add_u32_e32 v93, s34, v93
	;; [unrolled: 1-line block ×16, first 2 shown]
	v_add_u32_e32 v20, -6, v20
	s_cmp_ge_i32 s36, s29
	s_waitcnt vmcnt(23)
	v_add_f64 v[62:63], v[66:67], -v[70:71]
	s_waitcnt vmcnt(21)
	v_add_f64 v[64:65], v[72:73], -v[74:75]
	;; [unrolled: 2-line block ×6, first 2 shown]
	s_waitcnt vmcnt(11)
	v_fma_f64 v[44:45], 2.0, v[46:47], v[50:51]
	s_waitcnt vmcnt(7)
	v_add_f64 v[14:15], v[14:15], -v[16:17]
	v_add_f64 v[12:13], v[12:13], -v[18:19]
	s_waitcnt vmcnt(6)
	v_mul_f64 v[16:17], v[46:47], v[6:7]
	s_waitcnt vmcnt(4)
	v_add_f64 v[18:19], v[24:25], -v[26:27]
	v_add_f64 v[22:23], v[22:23], -v[28:29]
	s_waitcnt vmcnt(2)
	v_add_f64 v[26:27], v[36:37], -v[38:39]
	s_waitcnt vmcnt(1)
	v_mul_f64 v[24:25], v[46:47], v[48:49]
	v_add_f64 v[28:29], v[34:35], -v[40:41]
	v_mul_f64 v[34:35], v[62:63], s[2:3]
	v_mul_f64 v[46:47], v[46:47], v[52:53]
	v_mul_f64 v[62:63], v[72:73], s[2:3]
	v_mul_f64 v[14:15], v[14:15], s[2:3]
	v_mul_f64 v[18:19], v[18:19], s[2:3]
	v_mul_f64 v[36:37], v[50:51], v[52:53]
	v_mul_f64 v[40:41], v[50:51], v[6:7]
	v_mul_f64 v[48:49], v[50:51], v[48:49]
	v_mul_f64 v[50:51], v[44:45], v[52:53]
	v_mul_f64 v[16:17], v[58:59], v[16:17]
	v_mul_f64 v[26:27], v[26:27], s[2:3]
	v_fma_f64 v[34:35], v[64:65], s[12:13], -v[34:35]
	v_mul_f64 v[46:47], v[46:47], v[58:59]
	v_fma_f64 v[42:43], v[42:43], s[12:13], -v[62:63]
	v_fma_f64 v[12:13], v[12:13], s[12:13], -v[14:15]
	;; [unrolled: 1-line block ×3, first 2 shown]
	v_mul_f64 v[24:25], v[58:59], v[24:25]
	v_mul_f64 v[6:7], v[44:45], v[6:7]
	;; [unrolled: 1-line block ×4, first 2 shown]
	v_fma_f64 v[18:19], v[28:29], s[12:13], -v[26:27]
	v_mul_f64 v[22:23], v[16:17], v[34:35]
	v_mul_f64 v[28:29], v[16:17], v[42:43]
	;; [unrolled: 1-line block ×10, first 2 shown]
	v_fma_f64 v[38:39], v[70:71], s[12:13], -v[38:39]
	v_mul_f64 v[40:41], v[58:59], v[40:41]
	v_mul_f64 v[6:7], v[58:59], v[6:7]
	;; [unrolled: 1-line block ×8, first 2 shown]
	v_fmac_f64_e32 v[16:17], v[54:55], v[48:49]
	v_mul_f64 v[18:19], v[54:55], v[18:19]
	v_fmac_f64_e32 v[14:15], v[40:41], v[12:13]
	v_mul_f64 v[22:23], v[4:5], v[22:23]
	v_mul_f64 v[28:29], v[4:5], v[28:29]
	;; [unrolled: 1-line block ×3, first 2 shown]
	v_fmac_f64_e32 v[16:17], v[54:55], v[24:25]
	v_fmac_f64_e32 v[18:19], v[54:55], v[44:45]
	;; [unrolled: 1-line block ×3, first 2 shown]
	v_mul_f64 v[36:37], v[36:37], v[58:59]
	v_fmac_f64_e32 v[16:17], v[100:101], v[22:23]
	v_fmac_f64_e32 v[18:19], v[100:101], v[28:29]
	;; [unrolled: 1-line block ×6, first 2 shown]
	s_waitcnt vmcnt(0)
	v_fma_f64 v[8:9], -v[60:61], v[16:17], v[8:9]
	v_fma_f64 v[2:3], -v[60:61], v[18:19], v[2:3]
	;; [unrolled: 1-line block ×3, first 2 shown]
	s_cbranch_scc0 .LBB4_11
; %bb.12:
	scratch_load_dwordx2 v[6:7], off, off offset:312 ; 8-byte Folded Reload
	scratch_load_dwordx2 v[22:23], off, off offset:336 ; 8-byte Folded Reload
	v_mul_f64 v[0:1], v[0:1], v[4:5]
	scratch_load_dwordx2 v[4:5], off, off offset:320 ; 8-byte Folded Reload
	s_load_dwordx4 s[4:7], s[0:1], 0x38
	s_waitcnt lgkmcnt(0)
	v_mul_f64 v[8:9], s[6:7], v[8:9]
	v_mul_f64 v[10:11], s[6:7], v[10:11]
	;; [unrolled: 1-line block ×3, first 2 shown]
	s_waitcnt vmcnt(2)
	v_lshl_add_u64 v[6:7], v[6:7], 3, s[26:27]
	global_load_dwordx2 v[12:13], v[6:7], off
	s_waitcnt vmcnt(2)
	v_div_scale_f64 v[14:15], s[0:1], v[22:23], v[22:23], v[0:1]
	v_rcp_f64_e32 v[16:17], v[14:15]
	v_div_scale_f64 v[18:19], vcc, v[0:1], v[22:23], v[0:1]
	s_waitcnt vmcnt(1)
	v_lshl_add_u64 v[4:5], v[4:5], 3, s[26:27]
	v_fma_f64 v[20:21], -v[14:15], v[16:17], 1.0
	v_fmac_f64_e32 v[16:17], v[16:17], v[20:21]
	v_fma_f64 v[20:21], -v[14:15], v[16:17], 1.0
	v_fmac_f64_e32 v[16:17], v[16:17], v[20:21]
	v_mul_f64 v[20:21], v[18:19], v[16:17]
	v_fma_f64 v[14:15], -v[14:15], v[20:21], v[18:19]
	v_div_fmas_f64 v[14:15], v[14:15], v[16:17], v[20:21]
	v_div_fixup_f64 v[0:1], v[14:15], v[22:23], v[0:1]
	s_waitcnt vmcnt(0)
	v_mul_f64 v[12:13], s[4:5], v[12:13]
	v_fmac_f64_e32 v[12:13], v[0:1], v[8:9]
	global_store_dwordx2 v[6:7], v[12:13], off
	global_load_dwordx2 v[6:7], v[4:5], off
	s_nop 0
	scratch_load_dwordx2 v[8:9], off, off offset:328 ; 8-byte Folded Reload
	s_waitcnt vmcnt(1)
	v_mul_f64 v[6:7], s[4:5], v[6:7]
	v_fmac_f64_e32 v[6:7], v[0:1], v[10:11]
	s_waitcnt vmcnt(0)
	v_lshl_add_u64 v[8:9], v[8:9], 3, s[26:27]
	global_store_dwordx2 v[4:5], v[6:7], off
	global_load_dwordx2 v[4:5], v[8:9], off
	s_waitcnt vmcnt(0)
	v_mul_f64 v[4:5], s[4:5], v[4:5]
	v_fmac_f64_e32 v[4:5], v[0:1], v[2:3]
	global_store_dwordx2 v[8:9], v[4:5], off
.LBB4_13:
	s_endpgm
	.section	.rodata,"a",@progbits
	.p2align	6, 0x0
	.amdhsa_kernel _Z7kernel5iiiiiiiiiiiiiddPKdS0_S0_S0_S0_PdS0_S0_S0_S0_S0_S0_S0_
		.amdhsa_group_segment_fixed_size 0
		.amdhsa_private_segment_fixed_size 884
		.amdhsa_kernarg_size 432
		.amdhsa_user_sgpr_count 2
		.amdhsa_user_sgpr_dispatch_ptr 0
		.amdhsa_user_sgpr_queue_ptr 0
		.amdhsa_user_sgpr_kernarg_segment_ptr 1
		.amdhsa_user_sgpr_dispatch_id 0
		.amdhsa_user_sgpr_kernarg_preload_length 0
		.amdhsa_user_sgpr_kernarg_preload_offset 0
		.amdhsa_user_sgpr_private_segment_size 0
		.amdhsa_uses_dynamic_stack 0
		.amdhsa_enable_private_segment 1
		.amdhsa_system_sgpr_workgroup_id_x 1
		.amdhsa_system_sgpr_workgroup_id_y 1
		.amdhsa_system_sgpr_workgroup_id_z 1
		.amdhsa_system_sgpr_workgroup_info 0
		.amdhsa_system_vgpr_workitem_id 2
		.amdhsa_next_free_vgpr 128
		.amdhsa_next_free_sgpr 44
		.amdhsa_accum_offset 128
		.amdhsa_reserve_vcc 1
		.amdhsa_float_round_mode_32 0
		.amdhsa_float_round_mode_16_64 0
		.amdhsa_float_denorm_mode_32 3
		.amdhsa_float_denorm_mode_16_64 3
		.amdhsa_dx10_clamp 1
		.amdhsa_ieee_mode 1
		.amdhsa_fp16_overflow 0
		.amdhsa_tg_split 0
		.amdhsa_exception_fp_ieee_invalid_op 0
		.amdhsa_exception_fp_denorm_src 0
		.amdhsa_exception_fp_ieee_div_zero 0
		.amdhsa_exception_fp_ieee_overflow 0
		.amdhsa_exception_fp_ieee_underflow 0
		.amdhsa_exception_fp_ieee_inexact 0
		.amdhsa_exception_int_div_zero 0
	.end_amdhsa_kernel
	.text
.Lfunc_end4:
	.size	_Z7kernel5iiiiiiiiiiiiiddPKdS0_S0_S0_S0_PdS0_S0_S0_S0_S0_S0_S0_, .Lfunc_end4-_Z7kernel5iiiiiiiiiiiiiddPKdS0_S0_S0_S0_PdS0_S0_S0_S0_S0_S0_S0_
                                        ; -- End function
	.set _Z7kernel5iiiiiiiiiiiiiddPKdS0_S0_S0_S0_PdS0_S0_S0_S0_S0_S0_S0_.num_vgpr, 128
	.set _Z7kernel5iiiiiiiiiiiiiddPKdS0_S0_S0_S0_PdS0_S0_S0_S0_S0_S0_S0_.num_agpr, 0
	.set _Z7kernel5iiiiiiiiiiiiiddPKdS0_S0_S0_S0_PdS0_S0_S0_S0_S0_S0_S0_.numbered_sgpr, 44
	.set _Z7kernel5iiiiiiiiiiiiiddPKdS0_S0_S0_S0_PdS0_S0_S0_S0_S0_S0_S0_.num_named_barrier, 0
	.set _Z7kernel5iiiiiiiiiiiiiddPKdS0_S0_S0_S0_PdS0_S0_S0_S0_S0_S0_S0_.private_seg_size, 884
	.set _Z7kernel5iiiiiiiiiiiiiddPKdS0_S0_S0_S0_PdS0_S0_S0_S0_S0_S0_S0_.uses_vcc, 1
	.set _Z7kernel5iiiiiiiiiiiiiddPKdS0_S0_S0_S0_PdS0_S0_S0_S0_S0_S0_S0_.uses_flat_scratch, 0
	.set _Z7kernel5iiiiiiiiiiiiiddPKdS0_S0_S0_S0_PdS0_S0_S0_S0_S0_S0_S0_.has_dyn_sized_stack, 0
	.set _Z7kernel5iiiiiiiiiiiiiddPKdS0_S0_S0_S0_PdS0_S0_S0_S0_S0_S0_S0_.has_recursion, 0
	.set _Z7kernel5iiiiiiiiiiiiiddPKdS0_S0_S0_S0_PdS0_S0_S0_S0_S0_S0_S0_.has_indirect_call, 0
	.section	.AMDGPU.csdata,"",@progbits
; Kernel info:
; codeLenInByte = 13724
; TotalNumSgprs: 50
; NumVgprs: 128
; NumAgprs: 0
; TotalNumVgprs: 128
; ScratchSize: 884
; MemoryBound: 0
; FloatMode: 240
; IeeeMode: 1
; LDSByteSize: 0 bytes/workgroup (compile time only)
; SGPRBlocks: 6
; VGPRBlocks: 15
; NumSGPRsForWavesPerEU: 50
; NumVGPRsForWavesPerEU: 128
; AccumOffset: 128
; Occupancy: 4
; WaveLimiterHint : 0
; COMPUTE_PGM_RSRC2:SCRATCH_EN: 1
; COMPUTE_PGM_RSRC2:USER_SGPR: 2
; COMPUTE_PGM_RSRC2:TRAP_HANDLER: 0
; COMPUTE_PGM_RSRC2:TGID_X_EN: 1
; COMPUTE_PGM_RSRC2:TGID_Y_EN: 1
; COMPUTE_PGM_RSRC2:TGID_Z_EN: 1
; COMPUTE_PGM_RSRC2:TIDIG_COMP_CNT: 2
; COMPUTE_PGM_RSRC3_GFX90A:ACCUM_OFFSET: 31
; COMPUTE_PGM_RSRC3_GFX90A:TG_SPLIT: 0
	.text
	.p2alignl 6, 3212836864
	.fill 256, 4, 3212836864
	.section	.AMDGPU.gpr_maximums,"",@progbits
	.set amdgpu.max_num_vgpr, 0
	.set amdgpu.max_num_agpr, 0
	.set amdgpu.max_num_sgpr, 0
	.text
	.type	__hip_cuid_93d1968e583e2778,@object ; @__hip_cuid_93d1968e583e2778
	.section	.bss,"aw",@nobits
	.globl	__hip_cuid_93d1968e583e2778
__hip_cuid_93d1968e583e2778:
	.byte	0                               ; 0x0
	.size	__hip_cuid_93d1968e583e2778, 1

	.ident	"AMD clang version 22.0.0git (https://github.com/RadeonOpenCompute/llvm-project roc-7.2.4 26084 f58b06dce1f9c15707c5f808fd002e18c2accf7e)"
	.section	".note.GNU-stack","",@progbits
	.addrsig
	.addrsig_sym __hip_cuid_93d1968e583e2778
	.amdgpu_metadata
---
amdhsa.kernels:
  - .agpr_count:     0
    .args:
      - .offset:         0
        .size:           4
        .value_kind:     by_value
      - .offset:         4
        .size:           4
        .value_kind:     by_value
      - .offset:         8
        .size:           4
        .value_kind:     by_value
      - .offset:         12
        .size:           4
        .value_kind:     by_value
      - .offset:         16
        .size:           4
        .value_kind:     by_value
      - .offset:         20
        .size:           4
        .value_kind:     by_value
      - .offset:         24
        .size:           4
        .value_kind:     by_value
      - .offset:         28
        .size:           4
        .value_kind:     by_value
      - .offset:         32
        .size:           4
        .value_kind:     by_value
      - .offset:         36
        .size:           4
        .value_kind:     by_value
      - .offset:         40
        .size:           4
        .value_kind:     by_value
      - .offset:         44
        .size:           4
        .value_kind:     by_value
      - .offset:         48
        .size:           8
        .value_kind:     by_value
      - .offset:         56
        .size:           8
        .value_kind:     by_value
      - .actual_access:  read_only
        .address_space:  global
        .offset:         64
        .size:           8
        .value_kind:     global_buffer
      - .actual_access:  read_only
        .address_space:  global
        .offset:         72
        .size:           8
        .value_kind:     global_buffer
      - .actual_access:  read_only
        .address_space:  global
        .offset:         80
        .size:           8
        .value_kind:     global_buffer
      - .actual_access:  read_only
        .address_space:  global
        .offset:         88
        .size:           8
        .value_kind:     global_buffer
      - .actual_access:  read_only
        .address_space:  global
        .offset:         96
        .size:           8
        .value_kind:     global_buffer
      - .address_space:  global
        .offset:         104
        .size:           8
        .value_kind:     global_buffer
      - .actual_access:  read_only
        .address_space:  global
        .offset:         112
        .size:           8
        .value_kind:     global_buffer
      - .actual_access:  read_only
        .address_space:  global
        .offset:         120
        .size:           8
        .value_kind:     global_buffer
      - .actual_access:  read_only
        .address_space:  global
        .offset:         128
        .size:           8
        .value_kind:     global_buffer
      - .actual_access:  read_only
        .address_space:  global
        .offset:         136
        .size:           8
        .value_kind:     global_buffer
      - .actual_access:  read_only
        .address_space:  global
        .offset:         144
        .size:           8
        .value_kind:     global_buffer
      - .actual_access:  read_only
        .address_space:  global
        .offset:         152
        .size:           8
        .value_kind:     global_buffer
      - .actual_access:  read_only
        .address_space:  global
        .offset:         160
        .size:           8
        .value_kind:     global_buffer
      - .offset:         168
        .size:           4
        .value_kind:     hidden_block_count_x
      - .offset:         172
        .size:           4
        .value_kind:     hidden_block_count_y
      - .offset:         176
        .size:           4
        .value_kind:     hidden_block_count_z
      - .offset:         180
        .size:           2
        .value_kind:     hidden_group_size_x
      - .offset:         182
        .size:           2
        .value_kind:     hidden_group_size_y
      - .offset:         184
        .size:           2
        .value_kind:     hidden_group_size_z
      - .offset:         186
        .size:           2
        .value_kind:     hidden_remainder_x
      - .offset:         188
        .size:           2
        .value_kind:     hidden_remainder_y
      - .offset:         190
        .size:           2
        .value_kind:     hidden_remainder_z
      - .offset:         208
        .size:           8
        .value_kind:     hidden_global_offset_x
      - .offset:         216
        .size:           8
        .value_kind:     hidden_global_offset_y
      - .offset:         224
        .size:           8
        .value_kind:     hidden_global_offset_z
      - .offset:         232
        .size:           2
        .value_kind:     hidden_grid_dims
    .group_segment_fixed_size: 0
    .kernarg_segment_align: 8
    .kernarg_segment_size: 424
    .language:       OpenCL C
    .language_version:
      - 2
      - 0
    .max_flat_workgroup_size: 1024
    .name:           _Z7kernel1iiiiiiiiiiiiddPKdS0_S0_S0_S0_PdS0_S0_S0_S0_S0_S0_S0_
    .private_segment_fixed_size: 884
    .sgpr_count:     51
    .sgpr_spill_count: 0
    .symbol:         _Z7kernel1iiiiiiiiiiiiddPKdS0_S0_S0_S0_PdS0_S0_S0_S0_S0_S0_S0_.kd
    .uniform_work_group_size: 1
    .uses_dynamic_stack: false
    .vgpr_count:     128
    .vgpr_spill_count: 233
    .wavefront_size: 64
  - .agpr_count:     0
    .args:
      - .offset:         0
        .size:           4
        .value_kind:     by_value
      - .offset:         4
        .size:           4
        .value_kind:     by_value
      - .offset:         8
        .size:           4
        .value_kind:     by_value
      - .offset:         12
        .size:           4
        .value_kind:     by_value
      - .offset:         16
        .size:           4
        .value_kind:     by_value
      - .offset:         20
        .size:           4
        .value_kind:     by_value
      - .offset:         24
        .size:           4
        .value_kind:     by_value
      - .offset:         28
        .size:           4
        .value_kind:     by_value
      - .offset:         32
        .size:           4
        .value_kind:     by_value
      - .offset:         36
        .size:           4
        .value_kind:     by_value
      - .offset:         40
        .size:           4
        .value_kind:     by_value
      - .offset:         44
        .size:           4
        .value_kind:     by_value
      - .offset:         48
        .size:           8
        .value_kind:     by_value
      - .offset:         56
        .size:           8
        .value_kind:     by_value
      - .actual_access:  read_only
        .address_space:  global
        .offset:         64
        .size:           8
        .value_kind:     global_buffer
      - .actual_access:  read_only
        .address_space:  global
        .offset:         72
        .size:           8
        .value_kind:     global_buffer
      - .actual_access:  read_only
        .address_space:  global
        .offset:         80
        .size:           8
        .value_kind:     global_buffer
      - .actual_access:  read_only
        .address_space:  global
        .offset:         88
        .size:           8
        .value_kind:     global_buffer
      - .actual_access:  read_only
        .address_space:  global
        .offset:         96
        .size:           8
        .value_kind:     global_buffer
      - .address_space:  global
        .offset:         104
        .size:           8
        .value_kind:     global_buffer
      - .actual_access:  read_only
        .address_space:  global
        .offset:         112
        .size:           8
        .value_kind:     global_buffer
      - .actual_access:  read_only
        .address_space:  global
        .offset:         120
        .size:           8
        .value_kind:     global_buffer
      - .actual_access:  read_only
        .address_space:  global
        .offset:         128
        .size:           8
        .value_kind:     global_buffer
      - .actual_access:  read_only
        .address_space:  global
        .offset:         136
        .size:           8
        .value_kind:     global_buffer
      - .actual_access:  read_only
        .address_space:  global
        .offset:         144
        .size:           8
        .value_kind:     global_buffer
      - .actual_access:  read_only
        .address_space:  global
        .offset:         152
        .size:           8
        .value_kind:     global_buffer
      - .actual_access:  read_only
        .address_space:  global
        .offset:         160
        .size:           8
        .value_kind:     global_buffer
      - .offset:         168
        .size:           4
        .value_kind:     hidden_block_count_x
      - .offset:         172
        .size:           4
        .value_kind:     hidden_block_count_y
      - .offset:         176
        .size:           4
        .value_kind:     hidden_block_count_z
      - .offset:         180
        .size:           2
        .value_kind:     hidden_group_size_x
      - .offset:         182
        .size:           2
        .value_kind:     hidden_group_size_y
      - .offset:         184
        .size:           2
        .value_kind:     hidden_group_size_z
      - .offset:         186
        .size:           2
        .value_kind:     hidden_remainder_x
      - .offset:         188
        .size:           2
        .value_kind:     hidden_remainder_y
      - .offset:         190
        .size:           2
        .value_kind:     hidden_remainder_z
      - .offset:         208
        .size:           8
        .value_kind:     hidden_global_offset_x
      - .offset:         216
        .size:           8
        .value_kind:     hidden_global_offset_y
      - .offset:         224
        .size:           8
        .value_kind:     hidden_global_offset_z
      - .offset:         232
        .size:           2
        .value_kind:     hidden_grid_dims
    .group_segment_fixed_size: 0
    .kernarg_segment_align: 8
    .kernarg_segment_size: 424
    .language:       OpenCL C
    .language_version:
      - 2
      - 0
    .max_flat_workgroup_size: 1024
    .name:           _Z7kernel2iiiiiiiiiiiiddPKdS0_S0_S0_S0_PdS0_S0_S0_S0_S0_S0_S0_
    .private_segment_fixed_size: 780
    .sgpr_count:     31
    .sgpr_spill_count: 0
    .symbol:         _Z7kernel2iiiiiiiiiiiiddPKdS0_S0_S0_S0_PdS0_S0_S0_S0_S0_S0_S0_.kd
    .uniform_work_group_size: 1
    .uses_dynamic_stack: false
    .vgpr_count:     128
    .vgpr_spill_count: 206
    .wavefront_size: 64
  - .agpr_count:     0
    .args:
      - .offset:         0
        .size:           4
        .value_kind:     by_value
      - .offset:         4
        .size:           4
        .value_kind:     by_value
      - .offset:         8
        .size:           4
        .value_kind:     by_value
      - .offset:         12
        .size:           4
        .value_kind:     by_value
      - .offset:         16
        .size:           4
        .value_kind:     by_value
      - .offset:         20
        .size:           4
        .value_kind:     by_value
      - .offset:         24
        .size:           4
        .value_kind:     by_value
      - .offset:         28
        .size:           4
        .value_kind:     by_value
      - .offset:         32
        .size:           4
        .value_kind:     by_value
      - .offset:         36
        .size:           4
        .value_kind:     by_value
      - .offset:         40
        .size:           4
        .value_kind:     by_value
      - .offset:         44
        .size:           4
        .value_kind:     by_value
      - .offset:         48
        .size:           8
        .value_kind:     by_value
      - .offset:         56
        .size:           8
        .value_kind:     by_value
      - .actual_access:  read_only
        .address_space:  global
        .offset:         64
        .size:           8
        .value_kind:     global_buffer
      - .actual_access:  read_only
        .address_space:  global
        .offset:         72
        .size:           8
        .value_kind:     global_buffer
      - .actual_access:  read_only
        .address_space:  global
        .offset:         80
        .size:           8
        .value_kind:     global_buffer
      - .actual_access:  read_only
        .address_space:  global
        .offset:         88
        .size:           8
        .value_kind:     global_buffer
      - .actual_access:  read_only
        .address_space:  global
        .offset:         96
        .size:           8
        .value_kind:     global_buffer
      - .address_space:  global
        .offset:         104
        .size:           8
        .value_kind:     global_buffer
      - .actual_access:  read_only
        .address_space:  global
        .offset:         112
        .size:           8
        .value_kind:     global_buffer
      - .actual_access:  read_only
        .address_space:  global
        .offset:         120
        .size:           8
        .value_kind:     global_buffer
      - .actual_access:  read_only
        .address_space:  global
        .offset:         128
        .size:           8
        .value_kind:     global_buffer
      - .actual_access:  read_only
        .address_space:  global
        .offset:         136
        .size:           8
        .value_kind:     global_buffer
      - .actual_access:  read_only
        .address_space:  global
        .offset:         144
        .size:           8
        .value_kind:     global_buffer
      - .actual_access:  read_only
        .address_space:  global
        .offset:         152
        .size:           8
        .value_kind:     global_buffer
      - .actual_access:  read_only
        .address_space:  global
        .offset:         160
        .size:           8
        .value_kind:     global_buffer
      - .offset:         168
        .size:           4
        .value_kind:     hidden_block_count_x
      - .offset:         172
        .size:           4
        .value_kind:     hidden_block_count_y
      - .offset:         176
        .size:           4
        .value_kind:     hidden_block_count_z
      - .offset:         180
        .size:           2
        .value_kind:     hidden_group_size_x
      - .offset:         182
        .size:           2
        .value_kind:     hidden_group_size_y
      - .offset:         184
        .size:           2
        .value_kind:     hidden_group_size_z
      - .offset:         186
        .size:           2
        .value_kind:     hidden_remainder_x
      - .offset:         188
        .size:           2
        .value_kind:     hidden_remainder_y
      - .offset:         190
        .size:           2
        .value_kind:     hidden_remainder_z
      - .offset:         208
        .size:           8
        .value_kind:     hidden_global_offset_x
      - .offset:         216
        .size:           8
        .value_kind:     hidden_global_offset_y
      - .offset:         224
        .size:           8
        .value_kind:     hidden_global_offset_z
      - .offset:         232
        .size:           2
        .value_kind:     hidden_grid_dims
    .group_segment_fixed_size: 0
    .kernarg_segment_align: 8
    .kernarg_segment_size: 424
    .language:       OpenCL C
    .language_version:
      - 2
      - 0
    .max_flat_workgroup_size: 1024
    .name:           _Z7kernel3iiiiiiiiiiiiddPKdS0_S0_S0_S0_PdS0_S0_S0_S0_S0_S0_S0_
    .private_segment_fixed_size: 664
    .sgpr_count:     34
    .sgpr_spill_count: 0
    .symbol:         _Z7kernel3iiiiiiiiiiiiddPKdS0_S0_S0_S0_PdS0_S0_S0_S0_S0_S0_S0_.kd
    .uniform_work_group_size: 1
    .uses_dynamic_stack: false
    .vgpr_count:     128
    .vgpr_spill_count: 189
    .wavefront_size: 64
  - .agpr_count:     0
    .args:
      - .offset:         0
        .size:           4
        .value_kind:     by_value
      - .offset:         4
        .size:           4
        .value_kind:     by_value
      - .offset:         8
        .size:           4
        .value_kind:     by_value
      - .offset:         12
        .size:           4
        .value_kind:     by_value
      - .offset:         16
        .size:           4
        .value_kind:     by_value
      - .offset:         20
        .size:           4
        .value_kind:     by_value
      - .offset:         24
        .size:           4
        .value_kind:     by_value
      - .offset:         28
        .size:           4
        .value_kind:     by_value
      - .offset:         32
        .size:           4
        .value_kind:     by_value
      - .offset:         36
        .size:           4
        .value_kind:     by_value
      - .offset:         40
        .size:           4
        .value_kind:     by_value
      - .offset:         44
        .size:           4
        .value_kind:     by_value
      - .offset:         48
        .size:           8
        .value_kind:     by_value
      - .offset:         56
        .size:           8
        .value_kind:     by_value
      - .actual_access:  read_only
        .address_space:  global
        .offset:         64
        .size:           8
        .value_kind:     global_buffer
      - .actual_access:  read_only
        .address_space:  global
        .offset:         72
        .size:           8
        .value_kind:     global_buffer
      - .actual_access:  read_only
        .address_space:  global
        .offset:         80
        .size:           8
        .value_kind:     global_buffer
      - .actual_access:  read_only
        .address_space:  global
        .offset:         88
        .size:           8
        .value_kind:     global_buffer
      - .actual_access:  read_only
        .address_space:  global
        .offset:         96
        .size:           8
        .value_kind:     global_buffer
      - .address_space:  global
        .offset:         104
        .size:           8
        .value_kind:     global_buffer
      - .actual_access:  read_only
        .address_space:  global
        .offset:         112
        .size:           8
        .value_kind:     global_buffer
      - .actual_access:  read_only
        .address_space:  global
        .offset:         120
        .size:           8
        .value_kind:     global_buffer
      - .actual_access:  read_only
        .address_space:  global
        .offset:         128
        .size:           8
        .value_kind:     global_buffer
      - .actual_access:  read_only
        .address_space:  global
        .offset:         136
        .size:           8
        .value_kind:     global_buffer
      - .actual_access:  read_only
        .address_space:  global
        .offset:         144
        .size:           8
        .value_kind:     global_buffer
      - .actual_access:  read_only
        .address_space:  global
        .offset:         152
        .size:           8
        .value_kind:     global_buffer
      - .actual_access:  read_only
        .address_space:  global
        .offset:         160
        .size:           8
        .value_kind:     global_buffer
      - .offset:         168
        .size:           4
        .value_kind:     hidden_block_count_x
      - .offset:         172
        .size:           4
        .value_kind:     hidden_block_count_y
      - .offset:         176
        .size:           4
        .value_kind:     hidden_block_count_z
      - .offset:         180
        .size:           2
        .value_kind:     hidden_group_size_x
      - .offset:         182
        .size:           2
        .value_kind:     hidden_group_size_y
      - .offset:         184
        .size:           2
        .value_kind:     hidden_group_size_z
      - .offset:         186
        .size:           2
        .value_kind:     hidden_remainder_x
      - .offset:         188
        .size:           2
        .value_kind:     hidden_remainder_y
      - .offset:         190
        .size:           2
        .value_kind:     hidden_remainder_z
      - .offset:         208
        .size:           8
        .value_kind:     hidden_global_offset_x
      - .offset:         216
        .size:           8
        .value_kind:     hidden_global_offset_y
      - .offset:         224
        .size:           8
        .value_kind:     hidden_global_offset_z
      - .offset:         232
        .size:           2
        .value_kind:     hidden_grid_dims
    .group_segment_fixed_size: 0
    .kernarg_segment_align: 8
    .kernarg_segment_size: 424
    .language:       OpenCL C
    .language_version:
      - 2
      - 0
    .max_flat_workgroup_size: 1024
    .name:           _Z7kernel4iiiiiiiiiiiiddPKdS0_S0_S0_S0_PdS0_S0_S0_S0_S0_S0_S0_
    .private_segment_fixed_size: 248
    .sgpr_count:     38
    .sgpr_spill_count: 0
    .symbol:         _Z7kernel4iiiiiiiiiiiiddPKdS0_S0_S0_S0_PdS0_S0_S0_S0_S0_S0_S0_.kd
    .uniform_work_group_size: 1
    .uses_dynamic_stack: false
    .vgpr_count:     128
    .vgpr_spill_count: 61
    .wavefront_size: 64
  - .agpr_count:     0
    .args:
      - .offset:         0
        .size:           4
        .value_kind:     by_value
      - .offset:         4
        .size:           4
        .value_kind:     by_value
      - .offset:         8
        .size:           4
        .value_kind:     by_value
      - .offset:         12
        .size:           4
        .value_kind:     by_value
      - .offset:         16
        .size:           4
        .value_kind:     by_value
      - .offset:         20
        .size:           4
        .value_kind:     by_value
      - .offset:         24
        .size:           4
        .value_kind:     by_value
      - .offset:         28
        .size:           4
        .value_kind:     by_value
      - .offset:         32
        .size:           4
        .value_kind:     by_value
      - .offset:         36
        .size:           4
        .value_kind:     by_value
      - .offset:         40
        .size:           4
        .value_kind:     by_value
      - .offset:         44
        .size:           4
        .value_kind:     by_value
      - .offset:         48
        .size:           4
        .value_kind:     by_value
      - .offset:         56
        .size:           8
        .value_kind:     by_value
      - .offset:         64
        .size:           8
        .value_kind:     by_value
      - .actual_access:  read_only
        .address_space:  global
        .offset:         72
        .size:           8
        .value_kind:     global_buffer
      - .actual_access:  read_only
        .address_space:  global
        .offset:         80
        .size:           8
        .value_kind:     global_buffer
      - .actual_access:  read_only
        .address_space:  global
        .offset:         88
        .size:           8
        .value_kind:     global_buffer
      - .actual_access:  read_only
        .address_space:  global
        .offset:         96
        .size:           8
        .value_kind:     global_buffer
      - .actual_access:  read_only
        .address_space:  global
        .offset:         104
        .size:           8
        .value_kind:     global_buffer
      - .address_space:  global
        .offset:         112
        .size:           8
        .value_kind:     global_buffer
      - .actual_access:  read_only
        .address_space:  global
        .offset:         120
        .size:           8
        .value_kind:     global_buffer
      - .actual_access:  read_only
        .address_space:  global
        .offset:         128
        .size:           8
        .value_kind:     global_buffer
      - .actual_access:  read_only
        .address_space:  global
        .offset:         136
        .size:           8
        .value_kind:     global_buffer
      - .actual_access:  read_only
        .address_space:  global
        .offset:         144
        .size:           8
        .value_kind:     global_buffer
      - .actual_access:  read_only
        .address_space:  global
        .offset:         152
        .size:           8
        .value_kind:     global_buffer
      - .actual_access:  read_only
        .address_space:  global
        .offset:         160
        .size:           8
        .value_kind:     global_buffer
      - .actual_access:  read_only
        .address_space:  global
        .offset:         168
        .size:           8
        .value_kind:     global_buffer
      - .offset:         176
        .size:           4
        .value_kind:     hidden_block_count_x
      - .offset:         180
        .size:           4
        .value_kind:     hidden_block_count_y
      - .offset:         184
        .size:           4
        .value_kind:     hidden_block_count_z
      - .offset:         188
        .size:           2
        .value_kind:     hidden_group_size_x
      - .offset:         190
        .size:           2
        .value_kind:     hidden_group_size_y
      - .offset:         192
        .size:           2
        .value_kind:     hidden_group_size_z
      - .offset:         194
        .size:           2
        .value_kind:     hidden_remainder_x
      - .offset:         196
        .size:           2
        .value_kind:     hidden_remainder_y
      - .offset:         198
        .size:           2
        .value_kind:     hidden_remainder_z
      - .offset:         216
        .size:           8
        .value_kind:     hidden_global_offset_x
      - .offset:         224
        .size:           8
        .value_kind:     hidden_global_offset_y
      - .offset:         232
        .size:           8
        .value_kind:     hidden_global_offset_z
      - .offset:         240
        .size:           2
        .value_kind:     hidden_grid_dims
    .group_segment_fixed_size: 0
    .kernarg_segment_align: 8
    .kernarg_segment_size: 432
    .language:       OpenCL C
    .language_version:
      - 2
      - 0
    .max_flat_workgroup_size: 1024
    .name:           _Z7kernel5iiiiiiiiiiiiiddPKdS0_S0_S0_S0_PdS0_S0_S0_S0_S0_S0_S0_
    .private_segment_fixed_size: 884
    .sgpr_count:     50
    .sgpr_spill_count: 0
    .symbol:         _Z7kernel5iiiiiiiiiiiiiddPKdS0_S0_S0_S0_PdS0_S0_S0_S0_S0_S0_S0_.kd
    .uniform_work_group_size: 1
    .uses_dynamic_stack: false
    .vgpr_count:     128
    .vgpr_spill_count: 238
    .wavefront_size: 64
amdhsa.target:   amdgcn-amd-amdhsa--gfx950
amdhsa.version:
  - 1
  - 2
...

	.end_amdgpu_metadata
